;; amdgpu-corpus repo=ROCm/aiter kind=harvested arch=n/a opt=n/a

/root/src/amdgpu-assembly/repos/ROCm__aiter/hsa/gfx950/fmha_v3_bwd/bwd_hd192_128_fp16_a32_pssk.co:	file format elf64-amdgpu

Disassembly of section .text:

0000000000004000 <_ZN5aiter32fmha_bwd_hd192_128_fp16_a32_psskE>:
	s_and_b32 s1, s1, 0xffff                                   // 000000004000: 8601FF01 0000FFFF
	s_load_dwordx2 s[32:33], s[0:1], 0x0                       // 000000004008: C0060800 00000000
	s_load_dwordx2 s[36:37], s[0:1], 0x10                      // 000000004010: C0060900 00000010
	s_load_dwordx2 s[40:41], s[0:1], 0x20                      // 000000004018: C0060A00 00000020
	s_load_dwordx2 s[8:9], s[0:1], 0x30                        // 000000004020: C0060200 00000030
	s_load_dwordx2 s[12:13], s[0:1], 0x40                      // 000000004028: C0060300 00000040
	s_load_dwordx2 s[16:17], s[0:1], 0x50                      // 000000004030: C0060400 00000050
	s_load_dwordx2 s[20:21], s[0:1], 0x60                      // 000000004038: C0060500 00000060
	s_load_dwordx2 s[24:25], s[0:1], 0x70                      // 000000004040: C0060600 00000070
	s_load_dwordx2 s[28:29], s[0:1], 0x80                      // 000000004048: C0060700 00000080
	s_load_dword s47, s[0:1], 0x90                             // 000000004050: C0020BC0 00000090
	s_load_dword s48, s[0:1], 0xa0                             // 000000004058: C0020C00 000000A0
	s_load_dword s49, s[0:1], 0xb0                             // 000000004060: C0020C40 000000B0
	s_load_dword s74, s[0:1], 0xd0                             // 000000004068: C0021280 000000D0
	s_load_dword s75, s[0:1], 0xe0                             // 000000004070: C00212C0 000000E0
	s_load_dword s5, s[0:1], 0xf0                              // 000000004078: C0020140 000000F0
	s_load_dword s44, s[0:1], 0x100                            // 000000004080: C0020B00 00000100
	s_load_dword s76, s[0:1], 0x110                            // 000000004088: C0021300 00000110
	s_load_dword s77, s[0:1], 0x120                            // 000000004090: C0021340 00000120
	s_load_dword s6, s[0:1], 0x130                             // 000000004098: C0020180 00000130
	s_load_dword s52, s[0:1], 0x140                            // 0000000040A0: C0020D00 00000140
	s_load_dword s50, s[0:1], 0x150                            // 0000000040A8: C0020C80 00000150
	s_load_dword s63, s[0:1], 0x160                            // 0000000040B0: C0020FC0 00000160
	s_load_dword s64, s[0:1], 0x180                            // 0000000040B8: C0021000 00000180
	s_load_dword s78, s[0:1], 0x190                            // 0000000040C0: C0021380 00000190
	s_load_dword s79, s[0:1], 0x1a0                            // 0000000040C8: C00213C0 000001A0
	s_load_dword s7, s[0:1], 0x1b0                             // 0000000040D0: C00201C0 000001B0
	s_load_dword s80, s[0:1], 0x1c0                            // 0000000040D8: C0021400 000001C0
	s_load_dword s81, s[0:1], 0x1d0                            // 0000000040E0: C0021440 000001D0
	s_load_dword s51, s[0:1], 0x1e0                            // 0000000040E8: C0020CC0 000001E0
	s_load_dword s82, s[0:1], 0x1f0                            // 0000000040F0: C0021480 000001F0
	s_load_dword s83, s[0:1], 0x200                            // 0000000040F8: C00214C0 00000200
	s_load_dword s84, s[0:1], 0x210                            // 000000004100: C0021500 00000210
	s_load_dword s85, s[0:1], 0x220                            // 000000004108: C0021540 00000220
	s_load_dword s53, s[0:1], 0x230                            // 000000004110: C0020D40 00000230
	v_lshrrev_b32_e32 v1, 10, v0                               // 000000004118: 2002008A
	v_lshrrev_b32_e32 v2, 10, v1                               // 00000000411C: 2004028A
	v_and_b32_e32 v2, 0x3ff, v2                                // 000000004120: 260404FF 000003FF
	v_and_b32_e32 v1, 0x3ff, v1                                // 000000004128: 260202FF 000003FF
	v_and_b32_e32 v0, 0x3ff, v0                                // 000000004130: 260000FF 000003FF
	v_lshrrev_b32_e32 v3, 6, v0                                // 000000004138: 20060086
	v_and_b32_e32 v0, 63, v0                                   // 00000000413C: 260000BF
	s_mov_b32 s2, s2                                           // 000000004140: BE820002
	s_mov_b32 s3, s3                                           // 000000004144: BE830003
	s_mov_b32 s4, s4                                           // 000000004148: BE840004
	v_readfirstlane_b32 s46, v3                                // 00000000414C: 7E5C0503
	s_waitcnt lgkmcnt(0)                                       // 000000004150: BF8CC07F
	s_mov_b32 s11, 0x20000                                     // 000000004154: BE8B00FF 00020000
	s_mov_b32 s15, 0x20000                                     // 00000000415C: BE8F00FF 00020000
	s_mov_b32 s19, 0x20000                                     // 000000004164: BE9300FF 00020000
	s_mov_b32 s23, 0x20000                                     // 00000000416C: BE9700FF 00020000
	s_mov_b32 s27, 0x20000                                     // 000000004174: BE9B00FF 00020000
	s_mov_b32 s31, 0x20000                                     // 00000000417C: BE9F00FF 00020000
	s_mov_b32 s35, 0x20000                                     // 000000004184: BEA300FF 00020000
	s_mov_b32 s39, 0x20000                                     // 00000000418C: BEA700FF 00020000
	s_mov_b32 s43, 0x20000                                     // 000000004194: BEAB00FF 00020000
	s_and_b32 s9, s9, 0xffff                                   // 00000000419C: 8609FF09 0000FFFF
	s_and_b32 s13, s13, 0xffff                                 // 0000000041A4: 860DFF0D 0000FFFF
	s_and_b32 s17, s17, 0xffff                                 // 0000000041AC: 8611FF11 0000FFFF
	s_and_b32 s21, s21, 0xffff                                 // 0000000041B4: 8615FF15 0000FFFF
	s_and_b32 s25, s25, 0xffff                                 // 0000000041BC: 8619FF19 0000FFFF
	s_and_b32 s29, s29, 0xffff                                 // 0000000041C4: 861DFF1D 0000FFFF
	s_and_b32 s33, s33, 0xffff                                 // 0000000041CC: 8621FF21 0000FFFF
	s_and_b32 s37, s37, 0xffff                                 // 0000000041D4: 8625FF25 0000FFFF
	s_and_b32 s41, s41, 0xffff                                 // 0000000041DC: 8629FF29 0000FFFF
	s_or_b32 s9, s9, 0x40000                                   // 0000000041E4: 8709FF09 00040000
	s_or_b32 s13, s13, 0x40000                                 // 0000000041EC: 870DFF0D 00040000
	s_or_b32 s17, s17, 0x40000                                 // 0000000041F4: 8711FF11 00040000
	s_or_b32 s21, s21, 0x40000                                 // 0000000041FC: 8715FF15 00040000
	s_or_b32 s25, s25, 0x40000                                 // 000000004204: 8719FF19 00040000
	s_or_b32 s29, s29, 0x40000                                 // 00000000420C: 871DFF1D 00040000
	s_or_b32 s33, s33, 0x40000                                 // 000000004214: 8721FF21 00040000
	s_or_b32 s37, s37, 0x40000                                 // 00000000421C: 8725FF25 00040000
	s_or_b32 s41, s41, 0x40000                                 // 000000004224: 8729FF29 00040000
	v_accvgpr_write_b32 a255, 0                                // 00000000422C: D3D940FF 18000080
	v_mov_b32_e32 v255, 0                                      // 000000004234: 7FFE0280
	s_mov_b32 s89, s8                                          // 000000004238: BED90008
	s_mov_b32 s91, s12                                         // 00000000423C: BEDB000C
	s_mov_b32 s93, s16                                         // 000000004240: BEDD0010
	s_mov_b32 s95, s20                                         // 000000004244: BEDF0014
	s_mov_b32 s90, s9                                          // 000000004248: BEDA0009
	s_mov_b32 s92, s13                                         // 00000000424C: BEDC000D
	s_mov_b32 s94, s17                                         // 000000004250: BEDE0011
	s_mov_b32 s96, s21                                         // 000000004254: BEE00015
	s_mov_b32 s71, s3                                          // 000000004258: BEC70003
	v_cvt_f32_u32_e32 v32, s44                                 // 00000000425C: 7E400C2C
	s_sub_i32 s60, 0, s44                                      // 000000004260: 81BC2C80
	v_rcp_iflag_f32_e32 v32, v32                               // 000000004264: 7E404720
	s_nop 0                                                    // 000000004268: BF800000
	v_mul_f32_e32 v32, 0x4f7ffffe, v32                         // 00000000426C: 0A4040FF 4F7FFFFE
	v_cvt_u32_f32_e32 v32, v32                                 // 000000004274: 7E400F20
	v_mul_lo_u32 v33, s60, v32                                 // 000000004278: D2850021 0002403C
	v_mul_hi_u32 v33, v32, v33                                 // 000000004280: D2860021 00024320
	v_add_u32_e32 v32, v32, v33                                // 000000004288: 68404320
	v_mul_hi_u32 v32, s71, v32                                 // 00000000428C: D2860020 00024047
	v_mul_lo_u32 v33, v32, s44                                 // 000000004294: D2850021 00005920
	v_sub_u32_e32 v35, s71, v33                                // 00000000429C: 6A464247
	v_add_u32_e32 v34, 1, v32                                  // 0000000042A0: 68444081
	v_cmp_le_u32_e32 vcc, s44, v35                             // 0000000042A4: 7D96462C
	v_subrev_u32_e32 v33, s44, v35                             // 0000000042A8: 6C42462C
	s_nop 0                                                    // 0000000042AC: BF800000
	v_cndmask_b32_e32 v32, v32, v34, vcc                       // 0000000042B0: 00404520
	v_cndmask_b32_e32 v35, v35, v33, vcc                       // 0000000042B4: 00464323
	v_add_u32_e32 v33, 1, v32                                  // 0000000042B8: 68424081
	v_cmp_le_u32_e32 vcc, s44, v35                             // 0000000042BC: 7D96462C
	s_nop 1                                                    // 0000000042C0: BF800001
	v_cndmask_b32_e32 v35, v32, v33, vcc                       // 0000000042C4: 00464320
	s_nop 3                                                    // 0000000042C8: BF800003
	v_readfirstlane_b32 s45, v35                               // 0000000042CC: 7E5A0523
	s_nop 3                                                    // 0000000042D0: BF800003
	v_mov_b32_e32 v32, s47                                     // 0000000042D4: 7E40022F
	v_mul_f32_e32 v32, s48, v32                                // 0000000042D8: 0A404030
	s_mov_b32 s66, 0                                           // 0000000042DC: BEC20080
	s_mov_b32 s58, s49                                         // 0000000042E0: BEBA0031
	s_mov_b32 s59, 0                                           // 0000000042E4: BEBB0080
	v_readfirstlane_b32 s57, v32                               // 0000000042E8: 7E720520
	s_mul_i32 s60, s63, 64                                     // 0000000042EC: 923CC03F
	s_mov_b32 s67, s60                                         // 0000000042F0: BEC3003C
	s_cmp_lt_u32 s46, 2                                        // 0000000042F4: BF0A822E
	s_cselect_b32 s24, s24, s28                                // 0000000042F8: 85181C18
	s_cselect_b32 s25, s25, s29                                // 0000000042FC: 85191D19
	s_cselect_b32 s26, s26, s30                                // 000000004300: 851A1E1A
	s_cselect_b32 s27, s27, s31                                // 000000004304: 851B1F1B
	v_mov_b32_e32 v127, 0xff800000                             // 000000004308: 7EFE02FF FF800000
	s_mul_i32 s68, 4, s5                                       // 000000004310: 92440584
	s_mul_i32 s97, 4, s51                                      // 000000004314: 92613384
	s_mov_b32 s69, 16                                          // 000000004318: BEC50090
	s_mul_i32 s60, s6, 0xc0                                    // 00000000431C: 923CFF06 000000C0
	s_mul_i32 s60, s2, s60                                     // 000000004324: 923C3C02
	s_mul_i32 s61, s45, s76                                    // 000000004328: 923D4C2D
	s_mul_i32 s72, s4, s77                                     // 00000000432C: 92484D04
	s_mul_hi_u32 s62, s4, s77                                  // 000000004330: 963E4D04
	s_add_u32 s54, s60, s61                                    // 000000004334: 80363D3C
	s_add_u32 s54, s54, s72                                    // 000000004338: 80364836
	s_addc_u32 s62, s62, 0                                     // 00000000433C: 823E803E
	s_mul_i32 s60, s2, 0xc0                                    // 000000004340: 923CFF02 000000C0
	s_sub_i32 s60, s50, s60                                    // 000000004348: 81BC3C32
	s_mul_i32 s60, s6, s60                                     // 00000000434C: 923C3C06
	s_lshr_b32 s60, s60, 2                                     // 000000004350: 8F3C823C
	s_mov_b32 s14, s60                                         // 000000004354: BE8E003C
	s_add_u32 s12, s54, s91                                    // 000000004358: 800C5B36
	s_addc_u32 s13, s62, s92                                   // 00000000435C: 820D5C3E
	s_mul_i32 s60, s7, 0xc0                                    // 000000004360: 923CFF07 000000C0
	s_mul_i32 s60, s2, s60                                     // 000000004368: 923C3C02
	s_mul_i32 s61, s45, s78                                    // 00000000436C: 923D4E2D
	s_mul_i32 s72, s4, s79                                     // 000000004370: 92484F04
	s_mul_hi_u32 s62, s4, s79                                  // 000000004374: 963E4F04
	s_add_u32 s54, s60, s61                                    // 000000004378: 80363D3C
	s_add_u32 s54, s54, s72                                    // 00000000437C: 80364836
	s_addc_u32 s62, s62, 0                                     // 000000004380: 823E803E
	s_mul_i32 s60, s2, 0xc0                                    // 000000004384: 923CFF02 000000C0
	s_sub_i32 s60, s50, s60                                    // 00000000438C: 81BC3C32
	s_mul_i32 s60, s7, s60                                     // 000000004390: 923C3C07
	s_lshr_b32 s60, s60, 2                                     // 000000004394: 8F3C823C
	s_mov_b32 s18, s60                                         // 000000004398: BE92003C
	s_add_u32 s16, s54, s93                                    // 00000000439C: 80105D36
	s_addc_u32 s17, s62, s94                                   // 0000000043A0: 82115E3E
	s_mul_i32 s61, s3, s74                                     // 0000000043A4: 923D4A03
	s_mul_i32 s72, s4, s75                                     // 0000000043A8: 92484B04
	s_mul_hi_u32 s62, s4, s75                                  // 0000000043AC: 963E4B04
	s_add_u32 s55, s61, s72                                    // 0000000043B0: 8037483D
	s_addc_u32 s62, s62, 0                                     // 0000000043B4: 823E803E
	s_add_u32 s8, s55, s89                                     // 0000000043B8: 80085937
	s_addc_u32 s9, s62, s90                                    // 0000000043BC: 82095A3E
	s_mul_i32 s60, s5, s49                                     // 0000000043C0: 923C3105
	s_sub_i32 s61, s60, s61                                    // 0000000043C4: 81BD3D3C
	s_cmp_gt_i32 s5, s74                                       // 0000000043C8: BF024A05
	s_cselect_b32 s60, s61, s60                                // 0000000043CC: 853C3C3D
	s_sub_i32 s61, s60, s62                                    // 0000000043D0: 81BD3E3C
	s_cmp_gt_i32 s5, s75                                       // 0000000043D4: BF024B05
	s_cselect_b32 s60, s61, s60                                // 0000000043D8: 853C3C3D
	s_lshr_b32 s60, s60, 2                                     // 0000000043DC: 8F3C823C
	s_mov_b32 s10, s60                                         // 0000000043E0: BE8A003C
	s_mul_i32 s61, s3, s80                                     // 0000000043E4: 923D5003
	s_mul_i32 s72, s4, s81                                     // 0000000043E8: 92485104
	s_mul_hi_u32 s62, s4, s81                                  // 0000000043EC: 963E5104
	s_add_u32 s56, s61, s72                                    // 0000000043F0: 8038483D
	s_addc_u32 s62, s62, 0                                     // 0000000043F4: 823E803E
	s_add_u32 s20, s56, s95                                    // 0000000043F8: 80145F38
	s_addc_u32 s21, s62, s96                                   // 0000000043FC: 8215603E
	s_mul_i32 s60, s51, s49                                    // 000000004400: 923C3133
	s_sub_i32 s61, s60, s61                                    // 000000004404: 81BD3D3C
	s_cmp_gt_i32 s51, s80                                      // 000000004408: BF025033
	s_cselect_b32 s60, s61, s60                                // 00000000440C: 853C3C3D
	s_sub_i32 s61, s60, s62                                    // 000000004410: 81BD3E3C
	s_cmp_gt_i32 s51, s81                                      // 000000004414: BF025133
	s_cselect_b32 s60, s61, s60                                // 000000004418: 853C3C3D
	s_lshr_b32 s60, s60, 2                                     // 00000000441C: 8F3C823C
	s_mov_b32 s22, s60                                         // 000000004420: BE96003C
	s_mul_i32 s62, s4, s64                                     // 000000004424: 923E4004
	s_mul_i32 s62, s62, s49                                    // 000000004428: 923E313E
	s_lshl_b32 s62, s62, 2                                     // 00000000442C: 8E3E823E
	s_mul_i32 s61, s3, s49                                     // 000000004430: 923D3103
	s_mul_i32 s61, 4, s61                                      // 000000004434: 923D3D84
	s_add_u32 s65, s61, s62                                    // 000000004438: 80413E3D
	s_mul_i32 s60, 4, s49                                      // 00000000443C: 923C3184
	s_add_u32 s60, s60, s61                                    // 000000004440: 803C3D3C
	s_add_u32 s60, s60, s62                                    // 000000004444: 803C3E3C
	s_lshr_b32 s60, s60, 2                                     // 000000004448: 8F3C823C
	s_mov_b32 s26, s60                                         // 00000000444C: BE9A003C
	s_mov_b32 s30, s60                                         // 000000004450: BE9E003C
	s_mov_b32 s71, s6                                          // 000000004454: BEC70006
	v_and_b32_e32 v32, 3, v0                                   // 000000004458: 26400083
	v_and_b32_e32 v33, 1, v32                                  // 00000000445C: 26424081
	v_lshrrev_b32_e32 v34, 1, v32                              // 000000004460: 20444081
	v_lshrrev_b32_e32 v32, 5, v0                               // 000000004464: 20400085
	v_xor_b32_e32 v34, v34, v32                                // 000000004468: 2A444122
	v_lshlrev_b32_e32 v34, 1, v34                              // 00000000446C: 24444481
	v_add_u32_e32 v33, v34, v33                                // 000000004470: 68424322
	v_lshlrev_b32_e32 v33, 4, v33                              // 000000004474: 24424284
	v_lshrrev_b32_e32 v32, 2, v0                               // 000000004478: 20400082
	v_mul_i32_i24_e32 v32, s71, v32                            // 00000000447C: 0C404047
	v_add_u32_e32 v1, v32, v33                                 // 000000004480: 68024320
	s_mul_i32 s60, s46, 64                                     // 000000004484: 923CC02E
	v_add_u32_e32 v1, s60, v1                                  // 000000004488: 6802023C
	v_and_b32_e32 v32, 7, v0                                   // 00000000448C: 26400087
	v_lshrrev_b32_e32 v33, 3, v0                               // 000000004490: 20420083
	v_and_b32_e32 v33, 1, v33                                  // 000000004494: 26424281
	s_lshr_b32 s60, s46, 1                                     // 000000004498: 8F3C812E
	v_xor_b32_e64 v33, v33, s60                                // 00000000449C: D1150021 00007921
	v_lshlrev_b32_e32 v33, 3, v33                              // 0000000044A4: 24424283
	v_add_u32_e32 v32, v32, v33                                // 0000000044A8: 68404320
	v_lshlrev_b32_e32 v32, 2, v32                              // 0000000044AC: 24404082
	s_mul_i32 s60, s46, 4                                      // 0000000044B0: 923C842E
	v_lshrrev_b32_e32 v33, 4, v0                               // 0000000044B4: 20420084
	v_add_u32_e64 v33, v33, s60                                // 0000000044B8: D1340021 00007921
	v_mul_i32_i24_e32 v33, s71, v33                            // 0000000044C0: 0C424247
	v_add_u32_e32 v2, v32, v33                                 // 0000000044C4: 68044320
	s_mov_b32 s60, 0x100                                       // 0000000044C8: BEBC00FF 00000100
	v_add_u32_e64 v2, v2, s60                                  // 0000000044D0: D1340002 00007902
	v_add_u32_e64 v3, v2, 64                                   // 0000000044D8: D1340003 00018102
	s_mov_b32 s71, s7                                          // 0000000044E0: BEC70007
	v_and_b32_e32 v32, 3, v0                                   // 0000000044E4: 26400083
	v_and_b32_e32 v33, 1, v32                                  // 0000000044E8: 26424081
	v_lshrrev_b32_e32 v34, 1, v32                              // 0000000044EC: 20444081
	v_lshrrev_b32_e32 v32, 5, v0                               // 0000000044F0: 20400085
	v_xor_b32_e32 v34, v34, v32                                // 0000000044F4: 2A444122
	v_lshlrev_b32_e32 v34, 1, v34                              // 0000000044F8: 24444481
	v_add_u32_e32 v33, v34, v33                                // 0000000044FC: 68424322
	v_lshlrev_b32_e32 v33, 4, v33                              // 000000004500: 24424284
	v_lshrrev_b32_e32 v32, 2, v0                               // 000000004504: 20400082
	v_mul_i32_i24_e32 v32, s71, v32                            // 000000004508: 0C404047
	v_add_u32_e32 v4, v32, v33                                 // 00000000450C: 68084320
	s_mul_i32 s60, s46, 64                                     // 000000004510: 923CC02E
	v_add_u32_e32 v4, s60, v4                                  // 000000004514: 6808083C
	v_lshrrev_b32_e32 v1, 2, v1                                // 000000004518: 20020282
	v_lshrrev_b32_e32 v2, 2, v2                                // 00000000451C: 20040482
	v_lshrrev_b32_e32 v3, 2, v3                                // 000000004520: 20060682
	v_lshrrev_b32_e32 v4, 2, v4                                // 000000004524: 20080882
	v_and_b32_e32 v11, 15, v0                                  // 000000004528: 2616008F
	v_lshlrev_b32_e32 v11, 2, v11                              // 00000000452C: 24161682
	v_add_u32_e32 v11, s65, v11                                // 000000004530: 68161641
	v_lshrrev_b32_e32 v11, 2, v11                              // 000000004534: 20161682
	s_mov_b32 s70, s52                                         // 000000004538: BEC60034
	v_lshrrev_b32_e32 v32, 3, v0                               // 00000000453C: 20400083
	v_mul_i32_i24_e32 v5, s70, v32                             // 000000004540: 0C0A4046
	v_lshrrev_b32_e32 v5, 2, v5                                // 000000004544: 200A0A82
	v_and_b32_e32 v32, 7, v0                                   // 000000004548: 26400087
	v_lshlrev_b32_e32 v33, 2, v32                              // 00000000454C: 24424082
	v_add_u32_e32 v5, v33, v5                                  // 000000004550: 680A0B21
	s_mul_i32 s60, 16, s70                                     // 000000004554: 923C4690
	s_mul_i32 s60, s46, s60                                    // 000000004558: 923C3C2E
	v_lshlrev_b32_e32 v5, 2, v5                                // 00000000455C: 240A0A82
	v_add_u32_e32 v5, s60, v5                                  // 000000004560: 680A0A3C
	s_mul_i32 s60, 0xc0, s52                                   // 000000004564: 923C34FF 000000C0
	s_mul_i32 s60, s2, s60                                     // 00000000456C: 923C3C02
	s_mul_i32 s61, s3, s82                                     // 000000004570: 923D5203
	s_mul_i32 s72, s4, s83                                     // 000000004574: 92485304
	s_mul_hi_u32 s62, s4, s83                                  // 000000004578: 963E5304
	s_add_u32 s60, s60, s61                                    // 00000000457C: 803C3D3C
	s_add_u32 s60, s60, s72                                    // 000000004580: 803C483C
	s_addc_u32 s62, s62, 0                                     // 000000004584: 823E803E
	s_add_u32 s36, s60, s36                                    // 000000004588: 8024243C
	s_addc_u32 s37, s62, s37                                   // 00000000458C: 8225253E
	s_mul_i32 s60, s2, 0xc0                                    // 000000004590: 923CFF02 000000C0
	s_sub_i32 s60, s50, s60                                    // 000000004598: 81BC3C32
	s_mul_i32 s60, s52, s60                                    // 00000000459C: 923C3C34
	s_mov_b32 s38, s60                                         // 0000000045A0: BEA6003C
	s_mov_b32 s70, s53                                         // 0000000045A4: BEC60035
	v_lshrrev_b32_e32 v32, 3, v0                               // 0000000045A8: 20400083
	v_mul_i32_i24_e32 v6, s70, v32                             // 0000000045AC: 0C0C4046
	v_lshrrev_b32_e32 v6, 2, v6                                // 0000000045B0: 200C0C82
	v_and_b32_e32 v32, 7, v0                                   // 0000000045B4: 26400087
	v_lshlrev_b32_e32 v33, 2, v32                              // 0000000045B8: 24424082
	v_add_u32_e32 v6, v33, v6                                  // 0000000045BC: 680C0D21
	s_mul_i32 s60, 16, s70                                     // 0000000045C0: 923C4690
	s_mul_i32 s60, s46, s60                                    // 0000000045C4: 923C3C2E
	v_lshlrev_b32_e32 v6, 2, v6                                // 0000000045C8: 240C0C82
	v_add_u32_e32 v6, s60, v6                                  // 0000000045CC: 680C0C3C
	s_mul_i32 s60, 0xc0, s53                                   // 0000000045D0: 923C35FF 000000C0
	s_mul_i32 s60, s2, s60                                     // 0000000045D8: 923C3C02
	s_mul_i32 s61, s3, s84                                     // 0000000045DC: 923D5403
	s_mul_i32 s72, s4, s85                                     // 0000000045E0: 92485504
	s_mul_hi_u32 s62, s4, s85                                  // 0000000045E4: 963E5504
	s_add_u32 s60, s60, s61                                    // 0000000045E8: 803C3D3C
	s_add_u32 s60, s60, s72                                    // 0000000045EC: 803C483C
	s_addc_u32 s62, s62, 0                                     // 0000000045F0: 823E803E
	s_add_u32 s40, s60, s40                                    // 0000000045F4: 8028283C
	s_addc_u32 s41, s62, s41                                   // 0000000045F8: 8229293E
	s_mul_i32 s60, s2, 0xc0                                    // 0000000045FC: 923CFF02 000000C0
	s_sub_i32 s60, s50, s60                                    // 000000004604: 81BC3C32
	s_mul_i32 s60, s53, s60                                    // 000000004608: 923C3C35
	s_mov_b32 s42, s60                                         // 00000000460C: BEAA003C
	v_lshrrev_b32_e32 v32, 4, v0                               // 000000004610: 20400084
	v_mul_i32_i24_e64 v33, s63, 4                              // 000000004614: D1060021 0001083F
	v_mul_i32_i24_e32 v7, v33, v32                             // 00000000461C: 0C0E4121
	v_and_b32_e32 v32, 15, v0                                  // 000000004620: 2640008F
	v_add_u32_e32 v7, v32, v7                                  // 000000004624: 680E0F20
	s_mul_i32 s60, s46, 48                                     // 000000004628: 923CB02E
	v_add_u32_e32 v7, s60, v7                                  // 00000000462C: 680E0E3C
	v_lshlrev_b32_e32 v7, 2, v7                                // 000000004630: 240E0E82
	s_mul_i32 s60, s63, 4                                      // 000000004634: 923C843F
	v_add_u32_e32 v8, s60, v7                                  // 000000004638: 68100E3C
	v_add_u32_e32 v9, s60, v8                                  // 00000000463C: 6812103C
	v_add_u32_e32 v10, s60, v9                                 // 000000004640: 6814123C
	s_mul_i32 s72, s63, s65                                    // 000000004644: 9248413F
	s_mul_hi_u32 s60, s63, s65                                 // 000000004648: 963C413F
	s_and_b32 s60, s60, 0xffff                                 // 00000000464C: 863CFF3C 0000FFFF
	s_add_u32 s32, s72, s32                                    // 000000004654: 80202048
	s_addc_u32 s33, s60, s33                                   // 000000004658: 8221213C
	s_mul_i32 s60, s63, s49                                    // 00000000465C: 923C313F
	s_lshl_b32 s60, s60, 2                                     // 000000004660: 8E3C823C
	s_mov_b32 s34, s60                                         // 000000004664: BEA2003C
	s_mul_i32 s60, 3, s2                                       // 000000004668: 923C0283
	s_add_u32 s61, s50, 63                                     // 00000000466C: 803DBF32
	s_lshr_b32 s61, s61, 6                                     // 000000004670: 8F3D863D
	s_sub_i32 s73, s61, s60                                    // 000000004674: 81C93C3D
	s_cmp_lt_i32 s73, 3                                        // 000000004678: BF048349
	s_cselect_b32 s73, s73, 3                                  // 00000000467C: 85498349
	s_mul_i32 s60, 0xc0, s2                                    // 000000004680: 923C02FF 000000C0
	s_sub_i32 s98, s50, s60                                    // 000000004688: 81E23C32
	v_lshrrev_b32_e32 v32, 4, v0                               // 00000000468C: 20400084
	v_and_b32_e32 v33, 1, v32                                  // 000000004690: 26424081
	v_lshrrev_b32_e32 v34, 1, v32                              // 000000004694: 20444081
	v_and_b32_e32 v32, 15, v0                                  // 000000004698: 2640008F
	v_lshlrev_b32_e32 v12, 4, v32                              // 00000000469C: 24184084
	v_lshrrev_b32_e32 v32, 3, v32                              // 0000000046A0: 20404083
	v_xor_b32_e32 v32, v32, v34                                // 0000000046A4: 2A404520
	v_lshlrev_b32_e32 v32, 1, v32                              // 0000000046A8: 24404081
	v_add_u32_e32 v32, v33, v32                                // 0000000046AC: 68404121
	v_lshlrev_b32_e32 v32, 2, v32                              // 0000000046B0: 24404082
	v_add_u32_e32 v12, v32, v12                                // 0000000046B4: 68181920
	v_lshlrev_b32_e32 v12, 2, v12                              // 0000000046B8: 24181882
	s_mul_i32 s60, s46, 0x1800                                 // 0000000046BC: 923CFF2E 00001800
	v_add_u32_e32 v17, s60, v12                                // 0000000046C4: 6822183C
	s_mul_i32 s60, s46, 0x1000                                 // 0000000046C8: 923CFF2E 00001000
	v_add_u32_e32 v18, s60, v12                                // 0000000046D0: 6824183C
	v_and_b32_e32 v32, 15, v0                                  // 0000000046D4: 2640008F
	v_and_b32_e32 v33, 3, v32                                  // 0000000046D8: 26424083
	v_lshrrev_b32_e32 v34, 2, v32                              // 0000000046DC: 20444082
	v_lshlrev_b32_e32 v33, 1, v33                              // 0000000046E0: 24424281
	v_lshlrev_b32_e32 v34, 4, v34                              // 0000000046E4: 24444484
	v_add_u32_e32 v13, v33, v34                                // 0000000046E8: 681A4521
	v_lshrrev_b32_e32 v32, 5, v0                               // 0000000046EC: 20400085
	v_mul_i32_i24_e32 v33, 0x600, v32                          // 0000000046F0: 0C4240FF 00000600
	v_mul_i32_i24_e32 v34, 0x80, v32                           // 0000000046F8: 0C4440FF 00000080
	v_add_u32_e32 v19, v33, v13                                // 000000004700: 68261B21
	v_add_u32_e32 v13, v34, v13                                // 000000004704: 681A1B22
	v_lshrrev_b32_e32 v33, 4, v0                               // 000000004708: 20420084
	v_and_b32_e32 v33, 1, v33                                  // 00000000470C: 26424281
	v_mul_i32_i24_e32 v34, 0x80, v33                           // 000000004710: 0C4442FF 00000080
	v_add_u32_e32 v19, v34, v19                                // 000000004718: 68262722
	v_xor_b32_e32 v32, v32, v33                                // 00000000471C: 2A404320
	v_mul_i32_i24_e32 v32, 8, v32                              // 000000004720: 0C404088
	v_add_u32_e32 v13, v32, v13                                // 000000004724: 681A1B20
	v_mul_i32_i24_e32 v32, 8, v33                              // 000000004728: 0C404288
	v_xor_b32_e32 v33, 1, v33                                  // 00000000472C: 2A424281
	v_mul_i32_i24_e32 v33, 8, v33                              // 000000004730: 0C424288
	v_add_u32_e32 v20, v33, v19                                // 000000004734: 68282721
	v_add_u32_e32 v19, v32, v19                                // 000000004738: 68262720
	v_mov_b32_e32 v32, v19                                     // 00000000473C: 7E400313
	v_mov_b32_e32 v33, v20                                     // 000000004740: 7E420314
	s_and_b32 s60, 1, s46                                      // 000000004744: 863C2E81
	s_sub_i32 s61, 1, s60                                      // 000000004748: 81BD3C81
	v_mul_i32_i24_e32 v34, s61, v32                            // 00000000474C: 0C44403D
	v_mul_i32_i24_e32 v35, s60, v33                            // 000000004750: 0C46423C
	v_add_u32_e32 v19, v34, v35                                // 000000004754: 68264722
	v_mul_i32_i24_e32 v34, s60, v32                            // 000000004758: 0C44403C
	v_mul_i32_i24_e32 v35, s61, v33                            // 00000000475C: 0C46423D
	v_add_u32_e32 v20, v34, v35                                // 000000004760: 68284722
	s_mul_i32 s61, 0x100, s46                                  // 000000004764: 923D2EFF 00000100
	v_add_u32_e32 v19, s61, v19                                // 00000000476C: 6826263D
	s_lshr_b32 s61, s46, 1                                     // 000000004770: 8F3D812E
	s_mul_i32 s62, 0x100, s61                                  // 000000004774: 923E3DFF 00000100
	v_add_u32_e32 v19, s62, v19                                // 00000000477C: 6826263E
	v_mov_b32_e32 v21, v19                                     // 000000004780: 7E2A0313
	v_add_u32_e32 v21, 0x100, v21                              // 000000004784: 682A2AFF 00000100
	s_mul_i32 s60, 0x200, s60                                  // 00000000478C: 923C3CFF 00000200
	s_mul_i32 s61, 0x300, s61                                  // 000000004794: 923D3DFF 00000300
	v_add_u32_e32 v20, s60, v20                                // 00000000479C: 6828283C
	v_add_u32_e32 v20, s61, v20                                // 0000000047A0: 6828283D
	v_lshlrev_b32_e32 v13, 2, v13                              // 0000000047A4: 241A1A82
	v_lshlrev_b32_e32 v19, 2, v19                              // 0000000047A8: 24262682
	v_lshlrev_b32_e32 v20, 2, v20                              // 0000000047AC: 24282882
	v_lshlrev_b32_e32 v21, 2, v21                              // 0000000047B0: 242A2A82
	v_lshrrev_b32_e32 v32, 4, v0                               // 0000000047B4: 20400084
	v_mul_i32_i24_e32 v16, 4, v32                              // 0000000047B8: 0C204084
	v_and_b32_e32 v33, 3, v0                                   // 0000000047BC: 26420083
	v_add_u32_e32 v16, v33, v16                                // 0000000047C0: 68202121
	v_lshlrev_b32_e32 v16, 2, v16                              // 0000000047C4: 24202082
	v_and_b32_e32 v32, 15, v0                                  // 0000000047C8: 2640008F
	v_and_b32_e32 v33, 3, v32                                  // 0000000047CC: 26424083
	v_and_b32_e32 v34, 1, v33                                  // 0000000047D0: 26444281
	v_lshlrev_b32_e32 v14, 5, v34                              // 0000000047D4: 241C4485
	v_lshrrev_b32_e32 v33, 1, v33                              // 0000000047D8: 20424281
	v_mul_i32_i24_e32 v33, 0x48, v33                           // 0000000047DC: 0C4242FF 00000048
	v_add_u32_e32 v14, v33, v14                                // 0000000047E4: 681C1D21
	v_lshrrev_b32_e32 v33, 2, v32                              // 0000000047E8: 20424082
	v_lshlrev_b32_e32 v33, 1, v33                              // 0000000047EC: 24424281
	v_add_u32_e32 v14, v33, v14                                // 0000000047F0: 681C1D21
	v_lshrrev_b32_e32 v32, 5, v0                               // 0000000047F4: 20400085
	v_mul_i32_i24_e32 v32, 0x90, v32                           // 0000000047F8: 0C4040FF 00000090
	v_and_b32_e32 v33, 16, v0                                  // 000000004800: 26420090
	v_add_u32_e32 v14, v32, v14                                // 000000004804: 681C1D20
	v_add_u32_e32 v14, v33, v14                                // 000000004808: 681C1D21
	v_lshlrev_b32_e32 v14, 2, v14                              // 00000000480C: 241C1C82
	v_lshrrev_b32_e32 v32, 5, v0                               // 000000004810: 20400085
	v_mul_i32_i24_e32 v15, 0x48, v32                           // 000000004814: 0C1E40FF 00000048
	v_and_b32_e32 v32, 31, v0                                  // 00000000481C: 2640009F
	v_lshlrev_b32_e32 v32, 1, v32                              // 000000004820: 24404081
	v_add_u32_e32 v15, v32, v15                                // 000000004824: 681E1F20
	s_mul_i32 s60, s46, 0x90                                   // 000000004828: 923CFF2E 00000090
	v_add_u32_e32 v15, s60, v15                                // 000000004830: 681E1E3C
	v_lshlrev_b32_e32 v15, 2, v15                              // 000000004834: 241E1E82
	s_mul_i32 s60, s46, 0x400                                  // 000000004838: 923CFF2E 00000400
	s_add_u32 m0, 0, s60                                       // 000000004840: 807C3C80
	buffer_load_dwordx4 v4, s[16:19], 0 idxen lds              // 000000004844: E05D2000 80040004
	s_add_u32 m0, 0x1000, m0                                   // 00000000484C: 807C7CFF 00001000
	s_mul_i32 s60, 4, s7                                       // 000000004854: 923C0784
	v_add_u32_e32 v4, s60, v4                                  // 000000004858: 6808083C
	buffer_load_dwordx4 v4, s[16:19], 0 idxen lds              // 00000000485C: E05D2000 80040004
	s_add_u32 m0, 0x1000, m0                                   // 000000004864: 807C7CFF 00001000
	s_mul_i32 s60, 4, s7                                       // 00000000486C: 923C0784
	v_add_u32_e32 v4, s60, v4                                  // 000000004870: 6808083C
	buffer_load_dwordx4 v4, s[16:19], 0 idxen lds              // 000000004874: E05D2000 80040004
	s_add_u32 m0, 0x1000, m0                                   // 00000000487C: 807C7CFF 00001000
	s_mul_i32 s60, 4, s7                                       // 000000004884: 923C0784
	v_add_u32_e32 v4, s60, v4                                  // 000000004888: 6808083C
	buffer_load_dwordx4 v4, s[16:19], 0 idxen lds              // 00000000488C: E05D2000 80040004
	s_add_u32 m0, 0x1000, m0                                   // 000000004894: 807C7CFF 00001000
	s_mul_i32 s60, 4, s7                                       // 00000000489C: 923C0784
	v_add_u32_e32 v4, s60, v4                                  // 0000000048A0: 6808083C
	buffer_load_dwordx4 v4, s[16:19], 0 idxen lds              // 0000000048A4: E05D2000 80040004
	s_add_u32 m0, 0x1000, m0                                   // 0000000048AC: 807C7CFF 00001000
	s_mul_i32 s60, 4, s7                                       // 0000000048B4: 923C0784
	v_add_u32_e32 v4, s60, v4                                  // 0000000048B8: 6808083C
	buffer_load_dwordx4 v4, s[16:19], 0 idxen lds              // 0000000048BC: E05D2000 80040004
	s_add_u32 m0, 0x1000, m0                                   // 0000000048C4: 807C7CFF 00001000
	s_mul_i32 s60, 4, s7                                       // 0000000048CC: 923C0784
	v_add_u32_e32 v4, s60, v4                                  // 0000000048D0: 6808083C
	buffer_load_dwordx4 v4, s[16:19], 0 idxen lds              // 0000000048D4: E05D2000 80040004
	s_add_u32 m0, 0x1000, m0                                   // 0000000048DC: 807C7CFF 00001000
	s_mul_i32 s60, 4, s7                                       // 0000000048E4: 923C0784
	v_add_u32_e32 v4, s60, v4                                  // 0000000048E8: 6808083C
	buffer_load_dwordx4 v4, s[16:19], 0 idxen lds              // 0000000048EC: E05D2000 80040004
	s_add_u32 m0, 0x1000, m0                                   // 0000000048F4: 807C7CFF 00001000
	s_mul_i32 s60, 4, s7                                       // 0000000048FC: 923C0784
	v_add_u32_e32 v4, s60, v4                                  // 000000004900: 6808083C
	buffer_load_dwordx4 v4, s[16:19], 0 idxen lds              // 000000004904: E05D2000 80040004
	s_add_u32 m0, 0x1000, m0                                   // 00000000490C: 807C7CFF 00001000
	s_mul_i32 s60, 4, s7                                       // 000000004914: 923C0784
	v_add_u32_e32 v4, s60, v4                                  // 000000004918: 6808083C
	buffer_load_dwordx4 v4, s[16:19], 0 idxen lds              // 00000000491C: E05D2000 80040004
	s_add_u32 m0, 0x1000, m0                                   // 000000004924: 807C7CFF 00001000
	s_mul_i32 s60, 4, s7                                       // 00000000492C: 923C0784
	v_add_u32_e32 v4, s60, v4                                  // 000000004930: 6808083C
	buffer_load_dwordx4 v4, s[16:19], 0 idxen lds              // 000000004934: E05D2000 80040004
	s_add_u32 m0, 0x1000, m0                                   // 00000000493C: 807C7CFF 00001000
	s_mul_i32 s60, 4, s7                                       // 000000004944: 923C0784
	v_add_u32_e32 v4, s60, v4                                  // 000000004948: 6808083C
	buffer_load_dwordx4 v4, s[16:19], 0 idxen lds              // 00000000494C: E05D2000 80040004
	s_add_u32 m0, 0x1000, m0                                   // 000000004954: 807C7CFF 00001000
	s_mul_i32 s60, 4, s7                                       // 00000000495C: 923C0784
	v_add_u32_e32 v4, s60, v4                                  // 000000004960: 6808083C
	s_mul_i32 s60, s46, 0x400                                  // 000000004964: 923CFF2E 00000400
	s_mul_i32 s61, s46, 0x100                                  // 00000000496C: 923DFF2E 00000100
	s_add_u32 s74, 0xc000, s60                                 // 000000004974: 804A3CFF 0000C000
	s_add_u32 s75, 0xc000, s61                                 // 00000000497C: 804B3DFF 0000C000
	s_add_u32 s75, 0x1000, s75                                 // 000000004984: 804B4BFF 00001000
	s_add_u32 s76, 0x400, s75                                  // 00000000498C: 804C4BFF 00000400
	s_waitcnt vmcnt(8) lgkmcnt(0)                              // 000000004994: BF8C0078
	s_barrier                                                  // 000000004998: BF8A0000
	ds_read_b128 a[64:67], v18                                 // 00000000499C: DBFE0000 40000012
	ds_read_b128 a[68:71], v18 offset:1024                     // 0000000049A4: DBFE0400 44000012
	ds_read_b128 a[72:75], v18 offset:2048                     // 0000000049AC: DBFE0800 48000012
	ds_read_b128 a[76:79], v18 offset:3072                     // 0000000049B4: DBFE0C00 4C000012
	s_waitcnt lgkmcnt(0)                                       // 0000000049BC: BF8CC07F
	s_barrier                                                  // 0000000049C0: BF8A0000
	s_mov_b32 m0, s74                                          // 0000000049C4: BEFC004A
	buffer_load_dwordx4 v1, s[12:15], 0 idxen lds              // 0000000049C8: E05D2000 80030001
	s_mov_b32 m0, s75                                          // 0000000049D0: BEFC004B
	buffer_load_dword v2, s[12:15], 0 idxen lds                // 0000000049D4: E0512000 80030002
	s_mov_b32 m0, s76                                          // 0000000049DC: BEFC004C
	buffer_load_dword v3, s[12:15], 0 idxen lds                // 0000000049E0: E0512000 80030003
	s_add_u32 s74, 0x1800, s74                                 // 0000000049E8: 804A4AFF 00001800
	s_add_u32 s75, 0x1800, s75                                 // 0000000049F0: 804B4BFF 00001800
	s_add_u32 s76, 0x1800, s76                                 // 0000000049F8: 804C4CFF 00001800
	s_mul_i32 s60, 4, s6                                       // 000000004A00: 923C0684
	v_add_u32_e32 v1, s60, v1                                  // 000000004A04: 6802023C
	v_add_u32_e32 v2, s60, v2                                  // 000000004A08: 6804043C
	v_add_u32_e32 v3, s60, v3                                  // 000000004A0C: 6806063C
	s_mov_b32 m0, s74                                          // 000000004A10: BEFC004A
	buffer_load_dwordx4 v1, s[12:15], 0 idxen lds              // 000000004A14: E05D2000 80030001
	s_mov_b32 m0, s75                                          // 000000004A1C: BEFC004B
	buffer_load_dword v2, s[12:15], 0 idxen lds                // 000000004A20: E0512000 80030002
	s_mov_b32 m0, s76                                          // 000000004A28: BEFC004C
	buffer_load_dword v3, s[12:15], 0 idxen lds                // 000000004A2C: E0512000 80030003
	s_add_u32 s74, 0x1800, s74                                 // 000000004A34: 804A4AFF 00001800
	s_add_u32 s75, 0x1800, s75                                 // 000000004A3C: 804B4BFF 00001800
	s_add_u32 s76, 0x1800, s76                                 // 000000004A44: 804C4CFF 00001800
	s_mul_i32 s60, 4, s6                                       // 000000004A4C: 923C0684
	v_add_u32_e32 v1, s60, v1                                  // 000000004A50: 6802023C
	v_add_u32_e32 v2, s60, v2                                  // 000000004A54: 6804043C
	v_add_u32_e32 v3, s60, v3                                  // 000000004A58: 6806063C
	s_mov_b32 m0, s74                                          // 000000004A5C: BEFC004A
	buffer_load_dwordx4 v1, s[12:15], 0 idxen lds              // 000000004A60: E05D2000 80030001
	s_mov_b32 m0, s75                                          // 000000004A68: BEFC004B
	buffer_load_dword v2, s[12:15], 0 idxen lds                // 000000004A6C: E0512000 80030002
	s_mov_b32 m0, s76                                          // 000000004A74: BEFC004C
	buffer_load_dword v3, s[12:15], 0 idxen lds                // 000000004A78: E0512000 80030003
	s_add_u32 s74, 0x1800, s74                                 // 000000004A80: 804A4AFF 00001800
	s_add_u32 s75, 0x1800, s75                                 // 000000004A88: 804B4BFF 00001800
	s_add_u32 s76, 0x1800, s76                                 // 000000004A90: 804C4CFF 00001800
	s_mul_i32 s60, 4, s6                                       // 000000004A98: 923C0684
	v_add_u32_e32 v1, s60, v1                                  // 000000004A9C: 6802023C
	v_add_u32_e32 v2, s60, v2                                  // 000000004AA0: 6804043C
	v_add_u32_e32 v3, s60, v3                                  // 000000004AA4: 6806063C
	s_mov_b32 m0, s74                                          // 000000004AA8: BEFC004A
	buffer_load_dwordx4 v1, s[12:15], 0 idxen lds              // 000000004AAC: E05D2000 80030001
	s_mov_b32 m0, s75                                          // 000000004AB4: BEFC004B
	buffer_load_dword v2, s[12:15], 0 idxen lds                // 000000004AB8: E0512000 80030002
	s_mov_b32 m0, s76                                          // 000000004AC0: BEFC004C
	buffer_load_dword v3, s[12:15], 0 idxen lds                // 000000004AC4: E0512000 80030003
	s_add_u32 s74, 0x1800, s74                                 // 000000004ACC: 804A4AFF 00001800
	s_add_u32 s75, 0x1800, s75                                 // 000000004AD4: 804B4BFF 00001800
	s_add_u32 s76, 0x1800, s76                                 // 000000004ADC: 804C4CFF 00001800
	s_mul_i32 s60, 4, s6                                       // 000000004AE4: 923C0684
	v_add_u32_e32 v1, s60, v1                                  // 000000004AE8: 6802023C
	v_add_u32_e32 v2, s60, v2                                  // 000000004AEC: 6804043C
	v_add_u32_e32 v3, s60, v3                                  // 000000004AF0: 6806063C
	s_waitcnt vmcnt(16) lgkmcnt(0)                             // 000000004AF4: BF8C4070
	s_barrier                                                  // 000000004AF8: BF8A0000
	ds_read_b128 a[80:83], v18 offset:16384                    // 000000004AFC: DBFE4000 50000012
	ds_read_b128 a[84:87], v18 offset:17408                    // 000000004B04: DBFE4400 54000012
	ds_read_b128 a[88:91], v18 offset:18432                    // 000000004B0C: DBFE4800 58000012
	ds_read_b128 a[92:95], v18 offset:19456                    // 000000004B14: DBFE4C00 5C000012
	s_waitcnt lgkmcnt(0)                                       // 000000004B1C: BF8CC07F
	s_barrier                                                  // 000000004B20: BF8A0000
	s_mov_b32 m0, s74                                          // 000000004B24: BEFC004A
	buffer_load_dwordx4 v1, s[12:15], 0 idxen lds              // 000000004B28: E05D2000 80030001
	s_mov_b32 m0, s75                                          // 000000004B30: BEFC004B
	buffer_load_dword v2, s[12:15], 0 idxen lds                // 000000004B34: E0512000 80030002
	s_mov_b32 m0, s76                                          // 000000004B3C: BEFC004C
	buffer_load_dword v3, s[12:15], 0 idxen lds                // 000000004B40: E0512000 80030003
	s_add_u32 s74, 0x1800, s74                                 // 000000004B48: 804A4AFF 00001800
	s_add_u32 s75, 0x1800, s75                                 // 000000004B50: 804B4BFF 00001800
	s_add_u32 s76, 0x1800, s76                                 // 000000004B58: 804C4CFF 00001800
	s_mul_i32 s60, 4, s6                                       // 000000004B60: 923C0684
	v_add_u32_e32 v1, s60, v1                                  // 000000004B64: 6802023C
	v_add_u32_e32 v2, s60, v2                                  // 000000004B68: 6804043C
	v_add_u32_e32 v3, s60, v3                                  // 000000004B6C: 6806063C
	s_mov_b32 m0, s74                                          // 000000004B70: BEFC004A
	buffer_load_dwordx4 v1, s[12:15], 0 idxen lds              // 000000004B74: E05D2000 80030001
	s_mov_b32 m0, s75                                          // 000000004B7C: BEFC004B
	buffer_load_dword v2, s[12:15], 0 idxen lds                // 000000004B80: E0512000 80030002
	s_mov_b32 m0, s76                                          // 000000004B88: BEFC004C
	buffer_load_dword v3, s[12:15], 0 idxen lds                // 000000004B8C: E0512000 80030003
	s_add_u32 s74, 0x1800, s74                                 // 000000004B94: 804A4AFF 00001800
	s_add_u32 s75, 0x1800, s75                                 // 000000004B9C: 804B4BFF 00001800
	s_add_u32 s76, 0x1800, s76                                 // 000000004BA4: 804C4CFF 00001800
	s_mul_i32 s60, 4, s6                                       // 000000004BAC: 923C0684
	v_add_u32_e32 v1, s60, v1                                  // 000000004BB0: 6802023C
	v_add_u32_e32 v2, s60, v2                                  // 000000004BB4: 6804043C
	v_add_u32_e32 v3, s60, v3                                  // 000000004BB8: 6806063C
	s_mov_b32 m0, s74                                          // 000000004BBC: BEFC004A
	buffer_load_dwordx4 v1, s[12:15], 0 idxen lds              // 000000004BC0: E05D2000 80030001
	s_mov_b32 m0, s75                                          // 000000004BC8: BEFC004B
	buffer_load_dword v2, s[12:15], 0 idxen lds                // 000000004BCC: E0512000 80030002
	s_mov_b32 m0, s76                                          // 000000004BD4: BEFC004C
	buffer_load_dword v3, s[12:15], 0 idxen lds                // 000000004BD8: E0512000 80030003
	s_add_u32 s74, 0x1800, s74                                 // 000000004BE0: 804A4AFF 00001800
	s_add_u32 s75, 0x1800, s75                                 // 000000004BE8: 804B4BFF 00001800
	s_add_u32 s76, 0x1800, s76                                 // 000000004BF0: 804C4CFF 00001800
	s_mul_i32 s60, 4, s6                                       // 000000004BF8: 923C0684
	v_add_u32_e32 v1, s60, v1                                  // 000000004BFC: 6802023C
	v_add_u32_e32 v2, s60, v2                                  // 000000004C00: 6804043C
	v_add_u32_e32 v3, s60, v3                                  // 000000004C04: 6806063C
	s_mov_b32 m0, s74                                          // 000000004C08: BEFC004A
	buffer_load_dwordx4 v1, s[12:15], 0 idxen lds              // 000000004C0C: E05D2000 80030001
	s_mov_b32 m0, s75                                          // 000000004C14: BEFC004B
	buffer_load_dword v2, s[12:15], 0 idxen lds                // 000000004C18: E0512000 80030002
	s_mov_b32 m0, s76                                          // 000000004C20: BEFC004C
	buffer_load_dword v3, s[12:15], 0 idxen lds                // 000000004C24: E0512000 80030003
	s_add_u32 s74, 0x1800, s74                                 // 000000004C2C: 804A4AFF 00001800
	s_add_u32 s75, 0x1800, s75                                 // 000000004C34: 804B4BFF 00001800
	s_add_u32 s76, 0x1800, s76                                 // 000000004C3C: 804C4CFF 00001800
	s_mul_i32 s60, 4, s6                                       // 000000004C44: 923C0684
	v_add_u32_e32 v1, s60, v1                                  // 000000004C48: 6802023C
	v_add_u32_e32 v2, s60, v2                                  // 000000004C4C: 6804043C
	v_add_u32_e32 v3, s60, v3                                  // 000000004C50: 6806063C
	s_waitcnt vmcnt(24) lgkmcnt(0)                             // 000000004C54: BF8C4078
	s_barrier                                                  // 000000004C58: BF8A0000
	ds_read_b128 a[96:99], v18 offset:32768                    // 000000004C5C: DBFE8000 60000012
	ds_read_b128 a[100:103], v18 offset:33792                  // 000000004C64: DBFE8400 64000012
	ds_read_b128 a[104:107], v18 offset:34816                  // 000000004C6C: DBFE8800 68000012
	ds_read_b128 a[108:111], v18 offset:35840                  // 000000004C74: DBFE8C00 6C000012
	s_waitcnt lgkmcnt(0)                                       // 000000004C7C: BF8CC07F
	s_barrier                                                  // 000000004C80: BF8A0000
	s_mov_b32 m0, s74                                          // 000000004C84: BEFC004A
	buffer_load_dwordx4 v1, s[12:15], 0 idxen lds              // 000000004C88: E05D2000 80030001
	s_mov_b32 m0, s75                                          // 000000004C90: BEFC004B
	buffer_load_dword v2, s[12:15], 0 idxen lds                // 000000004C94: E0512000 80030002
	s_mov_b32 m0, s76                                          // 000000004C9C: BEFC004C
	buffer_load_dword v3, s[12:15], 0 idxen lds                // 000000004CA0: E0512000 80030003
	s_add_u32 s74, 0x1800, s74                                 // 000000004CA8: 804A4AFF 00001800
	s_add_u32 s75, 0x1800, s75                                 // 000000004CB0: 804B4BFF 00001800
	s_add_u32 s76, 0x1800, s76                                 // 000000004CB8: 804C4CFF 00001800
	s_mul_i32 s60, 4, s6                                       // 000000004CC0: 923C0684
	v_add_u32_e32 v1, s60, v1                                  // 000000004CC4: 6802023C
	v_add_u32_e32 v2, s60, v2                                  // 000000004CC8: 6804043C
	v_add_u32_e32 v3, s60, v3                                  // 000000004CCC: 6806063C
	s_mov_b32 m0, s74                                          // 000000004CD0: BEFC004A
	buffer_load_dwordx4 v1, s[12:15], 0 idxen lds              // 000000004CD4: E05D2000 80030001
	s_mov_b32 m0, s75                                          // 000000004CDC: BEFC004B
	buffer_load_dword v2, s[12:15], 0 idxen lds                // 000000004CE0: E0512000 80030002
	s_mov_b32 m0, s76                                          // 000000004CE8: BEFC004C
	buffer_load_dword v3, s[12:15], 0 idxen lds                // 000000004CEC: E0512000 80030003
	s_add_u32 s74, 0x1800, s74                                 // 000000004CF4: 804A4AFF 00001800
	s_add_u32 s75, 0x1800, s75                                 // 000000004CFC: 804B4BFF 00001800
	s_add_u32 s76, 0x1800, s76                                 // 000000004D04: 804C4CFF 00001800
	s_mul_i32 s60, 4, s6                                       // 000000004D0C: 923C0684
	v_add_u32_e32 v1, s60, v1                                  // 000000004D10: 6802023C
	v_add_u32_e32 v2, s60, v2                                  // 000000004D14: 6804043C
	v_add_u32_e32 v3, s60, v3                                  // 000000004D18: 6806063C
	s_mov_b32 m0, s74                                          // 000000004D1C: BEFC004A
	buffer_load_dwordx4 v1, s[12:15], 0 idxen lds              // 000000004D20: E05D2000 80030001
	s_mov_b32 m0, s75                                          // 000000004D28: BEFC004B
	buffer_load_dword v2, s[12:15], 0 idxen lds                // 000000004D2C: E0512000 80030002
	s_mov_b32 m0, s76                                          // 000000004D34: BEFC004C
	buffer_load_dword v3, s[12:15], 0 idxen lds                // 000000004D38: E0512000 80030003
	s_add_u32 s74, 0x1800, s74                                 // 000000004D40: 804A4AFF 00001800
	s_add_u32 s75, 0x1800, s75                                 // 000000004D48: 804B4BFF 00001800
	s_add_u32 s76, 0x1800, s76                                 // 000000004D50: 804C4CFF 00001800
	s_mul_i32 s60, 4, s6                                       // 000000004D58: 923C0684
	v_add_u32_e32 v1, s60, v1                                  // 000000004D5C: 6802023C
	v_add_u32_e32 v2, s60, v2                                  // 000000004D60: 6804043C
	v_add_u32_e32 v3, s60, v3                                  // 000000004D64: 6806063C
	s_mov_b32 m0, s74                                          // 000000004D68: BEFC004A
	buffer_load_dwordx4 v1, s[12:15], 0 idxen lds              // 000000004D6C: E05D2000 80030001
	s_mov_b32 m0, s75                                          // 000000004D74: BEFC004B
	buffer_load_dword v2, s[12:15], 0 idxen lds                // 000000004D78: E0512000 80030002
	s_mov_b32 m0, s76                                          // 000000004D80: BEFC004C
	buffer_load_dword v3, s[12:15], 0 idxen lds                // 000000004D84: E0512000 80030003
	s_add_u32 s74, 0x1800, s74                                 // 000000004D8C: 804A4AFF 00001800
	s_add_u32 s75, 0x1800, s75                                 // 000000004D94: 804B4BFF 00001800
	s_add_u32 s76, 0x1800, s76                                 // 000000004D9C: 804C4CFF 00001800
	s_mul_i32 s60, 4, s6                                       // 000000004DA4: 923C0684
	v_add_u32_e32 v1, s60, v1                                  // 000000004DA8: 6802023C
	v_add_u32_e32 v2, s60, v2                                  // 000000004DAC: 6804043C
	v_add_u32_e32 v3, s60, v3                                  // 000000004DB0: 6806063C
	s_lshr_b32 s60, s46, 1                                     // 000000004DB4: 8F3C812E
	s_lshl_b32 s60, s60, 8                                     // 000000004DB8: 8E3C883C
	s_add_u32 s74, 0x9300, s60                                 // 000000004DBC: 804A3CFF 00009300
	s_add_u32 s75, 0x200, s74                                  // 000000004DC4: 804B4AFF 00000200
	s_add_u32 s76, 0x200, s75                                  // 000000004DCC: 804C4BFF 00000200
	s_mul_i32 s60, s46, 0x400                                  // 000000004DD4: 923CFF2E 00000400
	s_add_u32 s86, 0x4800, s60                                 // 000000004DDC: 80563CFF 00004800
	s_add_u32 s87, 0x1000, s86                                 // 000000004DE4: 805756FF 00001000
	s_add_u32 s88, 0x1000, s87                                 // 000000004DEC: 805857FF 00001000
	s_mul_i32 s61, s46, 0x100                                  // 000000004DF4: 923DFF2E 00000100
	s_add_u32 s77, 0, s60                                      // 000000004DFC: 804D3C80
	s_add_u32 s78, 0, s61                                      // 000000004E00: 804E3D80
	s_add_u32 s78, 0x1000, s78                                 // 000000004E04: 804E4EFF 00001000
	s_add_u32 s79, 0x400, s78                                  // 000000004E0C: 804F4EFF 00000400
	s_add_u32 s80, 0x1800, s77                                 // 000000004E14: 80504DFF 00001800
	s_add_u32 s81, 0x1800, s78                                 // 000000004E1C: 80514EFF 00001800
	s_add_u32 s82, 0x1800, s79                                 // 000000004E24: 80524FFF 00001800
	s_add_u32 s83, 0x1800, s80                                 // 000000004E2C: 805350FF 00001800
	s_add_u32 s84, 0x1800, s81                                 // 000000004E34: 805451FF 00001800
	s_add_u32 s85, 0x1800, s82                                 // 000000004E3C: 805552FF 00001800
	v_add_u32_e32 v17, 0xc000, v17                             // 000000004E44: 682222FF 0000C000
	v_add_u32_e32 v19, 0xc000, v19                             // 000000004E4C: 682626FF 0000C000
	v_add_u32_e32 v20, 0xc000, v20                             // 000000004E54: 682828FF 0000C000
	v_add_u32_e32 v21, 0xc000, v21                             // 000000004E5C: 682A2AFF 0000C000
	s_mov_b32 s71, s5                                          // 000000004E64: BEC70005
	v_and_b32_e32 v32, 3, v0                                   // 000000004E68: 26400083
	v_and_b32_e32 v33, 1, v32                                  // 000000004E6C: 26424081
	v_lshrrev_b32_e32 v34, 1, v32                              // 000000004E70: 20444081
	v_lshrrev_b32_e32 v32, 5, v0                               // 000000004E74: 20400085
	v_xor_b32_e32 v34, v34, v32                                // 000000004E78: 2A444122
	v_lshlrev_b32_e32 v34, 1, v34                              // 000000004E7C: 24444481
	v_add_u32_e32 v33, v34, v33                                // 000000004E80: 68424322
	v_lshlrev_b32_e32 v33, 4, v33                              // 000000004E84: 24424284
	v_lshrrev_b32_e32 v32, 2, v0                               // 000000004E88: 20400082
	v_mul_i32_i24_e32 v32, s71, v32                            // 000000004E8C: 0C404047
	v_add_u32_e32 v1, v32, v33                                 // 000000004E90: 68024320
	s_mul_i32 s60, s46, 64                                     // 000000004E94: 923CC02E
	v_add_u32_e32 v1, s60, v1                                  // 000000004E98: 6802023C
	v_and_b32_e32 v32, 7, v0                                   // 000000004E9C: 26400087
	v_lshrrev_b32_e32 v33, 3, v0                               // 000000004EA0: 20420083
	v_and_b32_e32 v33, 1, v33                                  // 000000004EA4: 26424281
	s_lshr_b32 s60, s46, 1                                     // 000000004EA8: 8F3C812E
	v_xor_b32_e64 v33, v33, s60                                // 000000004EAC: D1150021 00007921
	v_lshlrev_b32_e32 v33, 3, v33                              // 000000004EB4: 24424283
	v_add_u32_e32 v32, v32, v33                                // 000000004EB8: 68404320
	v_lshlrev_b32_e32 v32, 2, v32                              // 000000004EBC: 24404082
	s_mul_i32 s60, s46, 4                                      // 000000004EC0: 923C842E
	v_lshrrev_b32_e32 v33, 4, v0                               // 000000004EC4: 20420084
	v_add_u32_e64 v33, v33, s60                                // 000000004EC8: D1340021 00007921
	v_mul_i32_i24_e32 v33, s71, v33                            // 000000004ED0: 0C424247
	v_add_u32_e32 v2, v32, v33                                 // 000000004ED4: 68044320
	s_mov_b32 s60, 0x100                                       // 000000004ED8: BEBC00FF 00000100
	v_add_u32_e64 v2, v2, s60                                  // 000000004EE0: D1340002 00007902
	v_add_u32_e64 v3, v2, 64                                   // 000000004EE8: D1340003 00018102
	s_mov_b32 s71, s51                                         // 000000004EF0: BEC70033
	v_and_b32_e32 v32, 3, v0                                   // 000000004EF4: 26400083
	v_and_b32_e32 v33, 1, v32                                  // 000000004EF8: 26424081
	v_lshrrev_b32_e32 v34, 1, v32                              // 000000004EFC: 20444081
	v_lshrrev_b32_e32 v32, 5, v0                               // 000000004F00: 20400085
	v_xor_b32_e32 v34, v34, v32                                // 000000004F04: 2A444122
	v_lshlrev_b32_e32 v34, 1, v34                              // 000000004F08: 24444481
	v_add_u32_e32 v33, v34, v33                                // 000000004F0C: 68424322
	v_lshlrev_b32_e32 v33, 4, v33                              // 000000004F10: 24424284
	v_lshrrev_b32_e32 v32, 2, v0                               // 000000004F14: 20400082
	v_mul_i32_i24_e32 v32, s71, v32                            // 000000004F18: 0C404047
	v_add_u32_e32 v4, v32, v33                                 // 000000004F1C: 68084320
	s_mul_i32 s60, s46, 64                                     // 000000004F20: 923CC02E
	v_add_u32_e32 v4, s60, v4                                  // 000000004F24: 6808083C
	v_lshrrev_b32_e32 v1, 2, v1                                // 000000004F28: 20020282
	v_lshrrev_b32_e32 v2, 2, v2                                // 000000004F2C: 20040482
	v_lshrrev_b32_e32 v3, 2, v3                                // 000000004F30: 20060682
	v_lshrrev_b32_e32 v4, 2, v4                                // 000000004F34: 20080882
	s_mov_b32 m0, s77                                          // 000000004F38: BEFC004D
	buffer_load_dwordx4 v1, s[8:11], 0 idxen lds               // 000000004F3C: E05D2000 80020001
	s_mov_b32 m0, s78                                          // 000000004F44: BEFC004E
	buffer_load_dword v2, s[8:11], 0 idxen lds                 // 000000004F48: E0512000 80020002
	s_mov_b32 m0, s79                                          // 000000004F50: BEFC004F
	buffer_load_dword v3, s[8:11], 0 idxen lds                 // 000000004F54: E0512000 80020003
	s_mov_b32 m0, s86                                          // 000000004F5C: BEFC0056
	buffer_load_dwordx4 v4, s[20:23], 0 idxen lds              // 000000004F60: E05D2000 80050004
	s_mov_b32 m0, s74                                          // 000000004F68: BEFC004A
	buffer_load_dword v11, s[24:27], 0 idxen lds               // 000000004F6C: E0512000 8006000B
	v_add_u32_e32 v1, s68, v1                                  // 000000004F74: 68020244
	v_add_u32_e32 v2, s68, v2                                  // 000000004F78: 68040444
	v_add_u32_e32 v3, s68, v3                                  // 000000004F7C: 68060644
	v_add_u32_e32 v4, s97, v4                                  // 000000004F80: 68080861
	v_add_u32_e32 v11, s69, v11                                // 000000004F84: 68161645
	s_mov_b32 m0, s80                                          // 000000004F88: BEFC0050
	buffer_load_dwordx4 v1, s[8:11], 0 idxen lds               // 000000004F8C: E05D2000 80020001
	s_mov_b32 m0, s81                                          // 000000004F94: BEFC0051
	buffer_load_dword v2, s[8:11], 0 idxen lds                 // 000000004F98: E0512000 80020002
	s_mov_b32 m0, s82                                          // 000000004FA0: BEFC0052
	buffer_load_dword v3, s[8:11], 0 idxen lds                 // 000000004FA4: E0512000 80020003
	s_mov_b32 m0, s87                                          // 000000004FAC: BEFC0057
	buffer_load_dwordx4 v4, s[20:23], 0 idxen lds              // 000000004FB0: E05D2000 80050004
	s_mov_b32 m0, s75                                          // 000000004FB8: BEFC004B
	buffer_load_dword v11, s[24:27], 0 idxen lds               // 000000004FBC: E0512000 8006000B
	v_add_u32_e32 v1, s68, v1                                  // 000000004FC4: 68020244
	v_add_u32_e32 v2, s68, v2                                  // 000000004FC8: 68040444
	v_add_u32_e32 v3, s68, v3                                  // 000000004FCC: 68060644
	v_add_u32_e32 v4, s97, v4                                  // 000000004FD0: 68080861
	v_add_u32_e32 v11, s69, v11                                // 000000004FD4: 68161645
	s_waitcnt vmcnt(5) lgkmcnt(0)                              // 000000004FD8: BF8C0075
	s_barrier                                                  // 000000004FDC: BF8A0000
	ds_read_b128 v[224:227], v12                               // 000000004FE0: D9FE0000 E000000C
	ds_read_b128 v[228:231], v12 offset:1024                   // 000000004FE8: D9FE0400 E400000C
	ds_read_b128 v[232:235], v12 offset:2048                   // 000000004FF0: D9FE0800 E800000C
	ds_read_b128 v[236:239], v12 offset:3072                   // 000000004FF8: D9FE0C00 EC00000C
	ds_read_b128 v[240:243], v12 offset:4096                   // 000000005000: D9FE1000 F000000C
	ds_read_b128 v[244:247], v12 offset:5120                   // 000000005008: D9FE1400 F400000C
	ds_read_b32 v104, v16 offset:37632                         // 000000005010: D86C9300 68000010
	ds_read_b32 v126, v16 offset:37888                         // 000000005018: D86C9400 7E000010
	ds_read_b128 a[0:3], v17                                   // 000000005020: DBFE0000 00000011
	ds_read_b128 a[4:7], v17 offset:1024                       // 000000005028: DBFE0400 04000011
	ds_read_b128 a[8:11], v17 offset:2048                      // 000000005030: DBFE0800 08000011
	ds_read_b128 a[12:15], v17 offset:3072                     // 000000005038: DBFE0C00 0C000011
	ds_read_b128 a[16:19], v17 offset:4096                     // 000000005040: DBFE1000 10000011
	ds_read_b128 a[20:23], v17 offset:5120                     // 000000005048: DBFE1400 14000011
	ds_read_b128 a[24:27], v17 offset:24576                    // 000000005050: DBFE6000 18000011
	ds_read_b128 a[28:31], v17 offset:25600                    // 000000005058: DBFE6400 1C000011
	ds_read_b128 a[32:35], v17 offset:26624                    // 000000005060: DBFE6800 20000011
	ds_read_b128 a[36:39], v17 offset:27648                    // 000000005068: DBFE6C00 24000011
	ds_read_b128 a[40:43], v17 offset:28672                    // 000000005070: DBFE7000 28000011
	ds_read_b128 a[44:47], v17 offset:29696                    // 000000005078: DBFE7400 2C000011
	v_accvgpr_write_b32 a112, 0                                // 000000005080: D3D94070 18000080
	v_accvgpr_write_b32 a113, 0                                // 000000005088: D3D94071 18000080
	v_accvgpr_write_b32 a114, 0                                // 000000005090: D3D94072 18000080
	v_accvgpr_write_b32 a115, 0                                // 000000005098: D3D94073 18000080
	v_accvgpr_write_b32 a116, 0                                // 0000000050A0: D3D94074 18000080
	v_accvgpr_write_b32 a117, 0                                // 0000000050A8: D3D94075 18000080
	v_accvgpr_write_b32 a118, 0                                // 0000000050B0: D3D94076 18000080
	v_accvgpr_write_b32 a119, 0                                // 0000000050B8: D3D94077 18000080
	v_accvgpr_write_b32 a120, 0                                // 0000000050C0: D3D94078 18000080
	v_accvgpr_write_b32 a121, 0                                // 0000000050C8: D3D94079 18000080
	v_accvgpr_write_b32 a122, 0                                // 0000000050D0: D3D9407A 18000080
	v_accvgpr_write_b32 a123, 0                                // 0000000050D8: D3D9407B 18000080
	v_accvgpr_write_b32 a124, 0                                // 0000000050E0: D3D9407C 18000080
	v_accvgpr_write_b32 a125, 0                                // 0000000050E8: D3D9407D 18000080
	v_accvgpr_write_b32 a126, 0                                // 0000000050F0: D3D9407E 18000080
	v_accvgpr_write_b32 a127, 0                                // 0000000050F8: D3D9407F 18000080
	v_accvgpr_write_b32 a128, 0                                // 000000005100: D3D94080 18000080
	v_accvgpr_write_b32 a129, 0                                // 000000005108: D3D94081 18000080
	v_accvgpr_write_b32 a130, 0                                // 000000005110: D3D94082 18000080
	v_accvgpr_write_b32 a131, 0                                // 000000005118: D3D94083 18000080
	v_accvgpr_write_b32 a132, 0                                // 000000005120: D3D94084 18000080
	v_accvgpr_write_b32 a133, 0                                // 000000005128: D3D94085 18000080
	v_accvgpr_write_b32 a134, 0                                // 000000005130: D3D94086 18000080
	v_accvgpr_write_b32 a135, 0                                // 000000005138: D3D94087 18000080
	v_accvgpr_write_b32 a136, 0                                // 000000005140: D3D94088 18000080
	v_accvgpr_write_b32 a137, 0                                // 000000005148: D3D94089 18000080
	v_accvgpr_write_b32 a138, 0                                // 000000005150: D3D9408A 18000080
	v_accvgpr_write_b32 a139, 0                                // 000000005158: D3D9408B 18000080
	v_accvgpr_write_b32 a140, 0                                // 000000005160: D3D9408C 18000080
	v_accvgpr_write_b32 a141, 0                                // 000000005168: D3D9408D 18000080
	v_accvgpr_write_b32 a142, 0                                // 000000005170: D3D9408E 18000080
	v_accvgpr_write_b32 a143, 0                                // 000000005178: D3D9408F 18000080
	v_accvgpr_write_b32 a144, 0                                // 000000005180: D3D94090 18000080
	v_accvgpr_write_b32 a145, 0                                // 000000005188: D3D94091 18000080
	v_accvgpr_write_b32 a146, 0                                // 000000005190: D3D94092 18000080
	v_accvgpr_write_b32 a147, 0                                // 000000005198: D3D94093 18000080
	v_accvgpr_write_b32 a148, 0                                // 0000000051A0: D3D94094 18000080
	v_accvgpr_write_b32 a149, 0                                // 0000000051A8: D3D94095 18000080
	v_accvgpr_write_b32 a150, 0                                // 0000000051B0: D3D94096 18000080
	v_accvgpr_write_b32 a151, 0                                // 0000000051B8: D3D94097 18000080
	v_accvgpr_write_b32 a152, 0                                // 0000000051C0: D3D94098 18000080
	v_accvgpr_write_b32 a153, 0                                // 0000000051C8: D3D94099 18000080
	v_accvgpr_write_b32 a154, 0                                // 0000000051D0: D3D9409A 18000080
	v_accvgpr_write_b32 a155, 0                                // 0000000051D8: D3D9409B 18000080
	v_accvgpr_write_b32 a156, 0                                // 0000000051E0: D3D9409C 18000080
	v_accvgpr_write_b32 a157, 0                                // 0000000051E8: D3D9409D 18000080
	v_accvgpr_write_b32 a158, 0                                // 0000000051F0: D3D9409E 18000080
	v_accvgpr_write_b32 a159, 0                                // 0000000051F8: D3D9409F 18000080
	v_accvgpr_write_b32 a160, 0                                // 000000005200: D3D940A0 18000080
	v_accvgpr_write_b32 a161, 0                                // 000000005208: D3D940A1 18000080
	v_accvgpr_write_b32 a162, 0                                // 000000005210: D3D940A2 18000080
	v_accvgpr_write_b32 a163, 0                                // 000000005218: D3D940A3 18000080
	v_accvgpr_write_b32 a164, 0                                // 000000005220: D3D940A4 18000080
	v_accvgpr_write_b32 a165, 0                                // 000000005228: D3D940A5 18000080
	v_accvgpr_write_b32 a166, 0                                // 000000005230: D3D940A6 18000080
	v_accvgpr_write_b32 a167, 0                                // 000000005238: D3D940A7 18000080
	v_accvgpr_write_b32 a168, 0                                // 000000005240: D3D940A8 18000080
	v_accvgpr_write_b32 a169, 0                                // 000000005248: D3D940A9 18000080
	v_accvgpr_write_b32 a170, 0                                // 000000005250: D3D940AA 18000080
	v_accvgpr_write_b32 a171, 0                                // 000000005258: D3D940AB 18000080
	v_accvgpr_write_b32 a172, 0                                // 000000005260: D3D940AC 18000080
	v_accvgpr_write_b32 a173, 0                                // 000000005268: D3D940AD 18000080
	v_accvgpr_write_b32 a174, 0                                // 000000005270: D3D940AE 18000080
	v_accvgpr_write_b32 a175, 0                                // 000000005278: D3D940AF 18000080
	v_accvgpr_write_b32 a176, 0                                // 000000005280: D3D940B0 18000080
	v_accvgpr_write_b32 a177, 0                                // 000000005288: D3D940B1 18000080
	v_accvgpr_write_b32 a178, 0                                // 000000005290: D3D940B2 18000080
	v_accvgpr_write_b32 a179, 0                                // 000000005298: D3D940B3 18000080
	v_accvgpr_write_b32 a180, 0                                // 0000000052A0: D3D940B4 18000080
	v_accvgpr_write_b32 a181, 0                                // 0000000052A8: D3D940B5 18000080
	v_accvgpr_write_b32 a182, 0                                // 0000000052B0: D3D940B6 18000080
	v_accvgpr_write_b32 a183, 0                                // 0000000052B8: D3D940B7 18000080
	v_accvgpr_write_b32 a184, 0                                // 0000000052C0: D3D940B8 18000080
	v_accvgpr_write_b32 a185, 0                                // 0000000052C8: D3D940B9 18000080
	v_accvgpr_write_b32 a186, 0                                // 0000000052D0: D3D940BA 18000080
	v_accvgpr_write_b32 a187, 0                                // 0000000052D8: D3D940BB 18000080
	v_accvgpr_write_b32 a188, 0                                // 0000000052E0: D3D940BC 18000080
	v_accvgpr_write_b32 a189, 0                                // 0000000052E8: D3D940BD 18000080
	v_accvgpr_write_b32 a190, 0                                // 0000000052F0: D3D940BE 18000080
	v_accvgpr_write_b32 a191, 0                                // 0000000052F8: D3D940BF 18000080
	v_accvgpr_write_b32 a192, 0                                // 000000005300: D3D940C0 18000080
	v_accvgpr_write_b32 a193, 0                                // 000000005308: D3D940C1 18000080
	v_accvgpr_write_b32 a194, 0                                // 000000005310: D3D940C2 18000080
	v_accvgpr_write_b32 a195, 0                                // 000000005318: D3D940C3 18000080
	v_accvgpr_write_b32 a196, 0                                // 000000005320: D3D940C4 18000080
	v_accvgpr_write_b32 a197, 0                                // 000000005328: D3D940C5 18000080
	v_accvgpr_write_b32 a198, 0                                // 000000005330: D3D940C6 18000080
	v_accvgpr_write_b32 a199, 0                                // 000000005338: D3D940C7 18000080
	v_accvgpr_write_b32 a200, 0                                // 000000005340: D3D940C8 18000080
	v_accvgpr_write_b32 a201, 0                                // 000000005348: D3D940C9 18000080
	v_accvgpr_write_b32 a202, 0                                // 000000005350: D3D940CA 18000080
	v_accvgpr_write_b32 a203, 0                                // 000000005358: D3D940CB 18000080
	v_accvgpr_write_b32 a204, 0                                // 000000005360: D3D940CC 18000080
	v_accvgpr_write_b32 a205, 0                                // 000000005368: D3D940CD 18000080
	v_accvgpr_write_b32 a206, 0                                // 000000005370: D3D940CE 18000080
	v_accvgpr_write_b32 a207, 0                                // 000000005378: D3D940CF 18000080
	v_accvgpr_write_b32 a208, 0                                // 000000005380: D3D940D0 18000080
	v_accvgpr_write_b32 a209, 0                                // 000000005388: D3D940D1 18000080
	v_accvgpr_write_b32 a210, 0                                // 000000005390: D3D940D2 18000080
	v_accvgpr_write_b32 a211, 0                                // 000000005398: D3D940D3 18000080
	v_accvgpr_write_b32 a212, 0                                // 0000000053A0: D3D940D4 18000080
	v_accvgpr_write_b32 a213, 0                                // 0000000053A8: D3D940D5 18000080
	v_accvgpr_write_b32 a214, 0                                // 0000000053B0: D3D940D6 18000080
	v_accvgpr_write_b32 a215, 0                                // 0000000053B8: D3D940D7 18000080
	v_accvgpr_write_b32 a216, 0                                // 0000000053C0: D3D940D8 18000080
	v_accvgpr_write_b32 a217, 0                                // 0000000053C8: D3D940D9 18000080
	v_accvgpr_write_b32 a218, 0                                // 0000000053D0: D3D940DA 18000080
	v_accvgpr_write_b32 a219, 0                                // 0000000053D8: D3D940DB 18000080
	v_accvgpr_write_b32 a220, 0                                // 0000000053E0: D3D940DC 18000080
	v_accvgpr_write_b32 a221, 0                                // 0000000053E8: D3D940DD 18000080
	v_accvgpr_write_b32 a222, 0                                // 0000000053F0: D3D940DE 18000080
	v_accvgpr_write_b32 a223, 0                                // 0000000053F8: D3D940DF 18000080
	v_accvgpr_write_b32 a224, 0                                // 000000005400: D3D940E0 18000080
	v_accvgpr_write_b32 a225, 0                                // 000000005408: D3D940E1 18000080
	v_accvgpr_write_b32 a226, 0                                // 000000005410: D3D940E2 18000080
	v_accvgpr_write_b32 a227, 0                                // 000000005418: D3D940E3 18000080
	v_accvgpr_write_b32 a228, 0                                // 000000005420: D3D940E4 18000080
	v_accvgpr_write_b32 a229, 0                                // 000000005428: D3D940E5 18000080
	v_accvgpr_write_b32 a230, 0                                // 000000005430: D3D940E6 18000080
	v_accvgpr_write_b32 a231, 0                                // 000000005438: D3D940E7 18000080
	v_accvgpr_write_b32 a232, 0                                // 000000005440: D3D940E8 18000080
	v_accvgpr_write_b32 a233, 0                                // 000000005448: D3D940E9 18000080
	v_accvgpr_write_b32 a234, 0                                // 000000005450: D3D940EA 18000080
	v_accvgpr_write_b32 a235, 0                                // 000000005458: D3D940EB 18000080
	v_accvgpr_write_b32 a236, 0                                // 000000005460: D3D940EC 18000080
	v_accvgpr_write_b32 a237, 0                                // 000000005468: D3D940ED 18000080
	v_accvgpr_write_b32 a238, 0                                // 000000005470: D3D940EE 18000080
	v_accvgpr_write_b32 a239, 0                                // 000000005478: D3D940EF 18000080
	v_accvgpr_write_b32 a240, 0                                // 000000005480: D3D940F0 18000080
	v_accvgpr_write_b32 a241, 0                                // 000000005488: D3D940F1 18000080
	v_accvgpr_write_b32 a242, 0                                // 000000005490: D3D940F2 18000080
	v_accvgpr_write_b32 a243, 0                                // 000000005498: D3D940F3 18000080
	v_accvgpr_write_b32 a244, 0                                // 0000000054A0: D3D940F4 18000080
	v_accvgpr_write_b32 a245, 0                                // 0000000054A8: D3D940F5 18000080
	v_accvgpr_write_b32 a246, 0                                // 0000000054B0: D3D940F6 18000080
	v_accvgpr_write_b32 a247, 0                                // 0000000054B8: D3D940F7 18000080
	v_accvgpr_write_b32 a248, 0                                // 0000000054C0: D3D940F8 18000080
	v_accvgpr_write_b32 a249, 0                                // 0000000054C8: D3D940F9 18000080
	v_accvgpr_write_b32 a250, 0                                // 0000000054D0: D3D940FA 18000080
	v_accvgpr_write_b32 a251, 0                                // 0000000054D8: D3D940FB 18000080
	v_accvgpr_write_b32 a252, 0                                // 0000000054E0: D3D940FC 18000080
	v_accvgpr_write_b32 a253, 0                                // 0000000054E8: D3D940FD 18000080
	v_accvgpr_write_b32 a254, 0                                // 0000000054F0: D3D940FE 18000080
	v_accvgpr_write_b32 a255, 0                                // 0000000054F8: D3D940FF 18000080
	v_mov_b32_e32 v128, 0                                      // 000000005500: 7F000280
	v_mov_b32_e32 v129, 0                                      // 000000005504: 7F020280
	v_mov_b32_e32 v130, 0                                      // 000000005508: 7F040280
	v_mov_b32_e32 v131, 0                                      // 00000000550C: 7F060280
	v_mov_b32_e32 v132, 0                                      // 000000005510: 7F080280
	v_mov_b32_e32 v133, 0                                      // 000000005514: 7F0A0280
	v_mov_b32_e32 v134, 0                                      // 000000005518: 7F0C0280
	v_mov_b32_e32 v135, 0                                      // 00000000551C: 7F0E0280
	v_mov_b32_e32 v136, 0                                      // 000000005520: 7F100280
	v_mov_b32_e32 v137, 0                                      // 000000005524: 7F120280
	v_mov_b32_e32 v138, 0                                      // 000000005528: 7F140280
	v_mov_b32_e32 v139, 0                                      // 00000000552C: 7F160280
	v_mov_b32_e32 v140, 0                                      // 000000005530: 7F180280
	v_mov_b32_e32 v141, 0                                      // 000000005534: 7F1A0280
	v_mov_b32_e32 v142, 0                                      // 000000005538: 7F1C0280
	v_mov_b32_e32 v143, 0                                      // 00000000553C: 7F1E0280
	v_mov_b32_e32 v144, 0                                      // 000000005540: 7F200280
	v_mov_b32_e32 v145, 0                                      // 000000005544: 7F220280
	v_mov_b32_e32 v146, 0                                      // 000000005548: 7F240280
	v_mov_b32_e32 v147, 0                                      // 00000000554C: 7F260280
	v_mov_b32_e32 v148, 0                                      // 000000005550: 7F280280
	v_mov_b32_e32 v149, 0                                      // 000000005554: 7F2A0280
	v_mov_b32_e32 v150, 0                                      // 000000005558: 7F2C0280
	v_mov_b32_e32 v151, 0                                      // 00000000555C: 7F2E0280
	v_mov_b32_e32 v152, 0                                      // 000000005560: 7F300280
	v_mov_b32_e32 v153, 0                                      // 000000005564: 7F320280
	v_mov_b32_e32 v154, 0                                      // 000000005568: 7F340280
	v_mov_b32_e32 v155, 0                                      // 00000000556C: 7F360280
	v_mov_b32_e32 v156, 0                                      // 000000005570: 7F380280
	v_mov_b32_e32 v157, 0                                      // 000000005574: 7F3A0280
	v_mov_b32_e32 v158, 0                                      // 000000005578: 7F3C0280
	v_mov_b32_e32 v159, 0                                      // 00000000557C: 7F3E0280
	v_mov_b32_e32 v160, 0                                      // 000000005580: 7F400280
	v_mov_b32_e32 v161, 0                                      // 000000005584: 7F420280
	v_mov_b32_e32 v162, 0                                      // 000000005588: 7F440280
	v_mov_b32_e32 v163, 0                                      // 00000000558C: 7F460280
	v_mov_b32_e32 v164, 0                                      // 000000005590: 7F480280
	v_mov_b32_e32 v165, 0                                      // 000000005594: 7F4A0280
	v_mov_b32_e32 v166, 0                                      // 000000005598: 7F4C0280
	v_mov_b32_e32 v167, 0                                      // 00000000559C: 7F4E0280
	v_mov_b32_e32 v168, 0                                      // 0000000055A0: 7F500280
	v_mov_b32_e32 v169, 0                                      // 0000000055A4: 7F520280
	v_mov_b32_e32 v170, 0                                      // 0000000055A8: 7F540280
	v_mov_b32_e32 v171, 0                                      // 0000000055AC: 7F560280
	v_mov_b32_e32 v172, 0                                      // 0000000055B0: 7F580280
	v_mov_b32_e32 v173, 0                                      // 0000000055B4: 7F5A0280
	v_mov_b32_e32 v174, 0                                      // 0000000055B8: 7F5C0280
	v_mov_b32_e32 v175, 0                                      // 0000000055BC: 7F5E0280
	v_mov_b32_e32 v176, 0                                      // 0000000055C0: 7F600280
	v_mov_b32_e32 v177, 0                                      // 0000000055C4: 7F620280
	v_mov_b32_e32 v178, 0                                      // 0000000055C8: 7F640280
	v_mov_b32_e32 v179, 0                                      // 0000000055CC: 7F660280
	v_mov_b32_e32 v180, 0                                      // 0000000055D0: 7F680280
	v_mov_b32_e32 v181, 0                                      // 0000000055D4: 7F6A0280
	v_mov_b32_e32 v182, 0                                      // 0000000055D8: 7F6C0280
	v_mov_b32_e32 v183, 0                                      // 0000000055DC: 7F6E0280
	v_mov_b32_e32 v184, 0                                      // 0000000055E0: 7F700280
	v_mov_b32_e32 v185, 0                                      // 0000000055E4: 7F720280
	v_mov_b32_e32 v186, 0                                      // 0000000055E8: 7F740280
	v_mov_b32_e32 v187, 0                                      // 0000000055EC: 7F760280
	v_mov_b32_e32 v188, 0                                      // 0000000055F0: 7F780280
	v_mov_b32_e32 v189, 0                                      // 0000000055F4: 7F7A0280
	v_mov_b32_e32 v190, 0                                      // 0000000055F8: 7F7C0280
	v_mov_b32_e32 v191, 0                                      // 0000000055FC: 7F7E0280
	v_mov_b32_e32 v192, 0                                      // 000000005600: 7F800280
	v_mov_b32_e32 v193, 0                                      // 000000005604: 7F820280
	v_mov_b32_e32 v194, 0                                      // 000000005608: 7F840280
	v_mov_b32_e32 v195, 0                                      // 00000000560C: 7F860280
	v_mov_b32_e32 v196, 0                                      // 000000005610: 7F880280
	v_mov_b32_e32 v197, 0                                      // 000000005614: 7F8A0280
	v_mov_b32_e32 v198, 0                                      // 000000005618: 7F8C0280
	v_mov_b32_e32 v199, 0                                      // 00000000561C: 7F8E0280
	v_mov_b32_e32 v200, 0                                      // 000000005620: 7F900280
	v_mov_b32_e32 v201, 0                                      // 000000005624: 7F920280
	v_mov_b32_e32 v202, 0                                      // 000000005628: 7F940280
	v_mov_b32_e32 v203, 0                                      // 00000000562C: 7F960280
	v_mov_b32_e32 v204, 0                                      // 000000005630: 7F980280
	v_mov_b32_e32 v205, 0                                      // 000000005634: 7F9A0280
	v_mov_b32_e32 v206, 0                                      // 000000005638: 7F9C0280
	v_mov_b32_e32 v207, 0                                      // 00000000563C: 7F9E0280
	v_mov_b32_e32 v208, 0                                      // 000000005640: 7FA00280
	v_mov_b32_e32 v209, 0                                      // 000000005644: 7FA20280
	v_mov_b32_e32 v210, 0                                      // 000000005648: 7FA40280
	v_mov_b32_e32 v211, 0                                      // 00000000564C: 7FA60280
	v_mov_b32_e32 v212, 0                                      // 000000005650: 7FA80280
	v_mov_b32_e32 v213, 0                                      // 000000005654: 7FAA0280
	v_mov_b32_e32 v214, 0                                      // 000000005658: 7FAC0280
	v_mov_b32_e32 v215, 0                                      // 00000000565C: 7FAE0280
	v_mov_b32_e32 v216, 0                                      // 000000005660: 7FB00280
	v_mov_b32_e32 v217, 0                                      // 000000005664: 7FB20280
	v_mov_b32_e32 v218, 0                                      // 000000005668: 7FB40280
	v_mov_b32_e32 v219, 0                                      // 00000000566C: 7FB60280
	v_mov_b32_e32 v220, 0                                      // 000000005670: 7FB80280
	v_mov_b32_e32 v221, 0                                      // 000000005674: 7FBA0280
	v_mov_b32_e32 v222, 0                                      // 000000005678: 7FBC0280
	v_mov_b32_e32 v223, 0                                      // 00000000567C: 7FBE0280
	v_mov_b32_e32 v108, 0                                      // 000000005680: 7ED80280
	v_mov_b32_e32 v109, 0                                      // 000000005684: 7EDA0280
	v_mov_b32_e32 v110, 0                                      // 000000005688: 7EDC0280
	v_mov_b32_e32 v111, 0                                      // 00000000568C: 7EDE0280
	v_mov_b32_e32 v112, 0                                      // 000000005690: 7EE00280
	v_mov_b32_e32 v113, 0                                      // 000000005694: 7EE20280
	v_mov_b32_e32 v114, 0                                      // 000000005698: 7EE40280
	v_mov_b32_e32 v115, 0                                      // 00000000569C: 7EE60280
	v_mov_b32_e32 v116, 0                                      // 0000000056A0: 7EE80280
	v_mov_b32_e32 v117, 0                                      // 0000000056A4: 7EEA0280
	v_mov_b32_e32 v118, 0                                      // 0000000056A8: 7EEC0280
	v_mov_b32_e32 v119, 0                                      // 0000000056AC: 7EEE0280
	s_waitcnt vmcnt(0) lgkmcnt(0)                              // 0000000056B0: BF8C0070
	s_barrier                                                  // 0000000056B4: BF8A0000
	s_mov_b32 m0, s83                                          // 0000000056B8: BEFC0053
	buffer_load_dwordx4 v1, s[8:11], 0 idxen lds               // 0000000056BC: E05D2000 80020001
	s_mov_b32 m0, s84                                          // 0000000056C4: BEFC0054
	buffer_load_dword v2, s[8:11], 0 idxen lds                 // 0000000056C8: E0512000 80020002
	s_mov_b32 m0, s85                                          // 0000000056D0: BEFC0055
	buffer_load_dword v3, s[8:11], 0 idxen lds                 // 0000000056D4: E0512000 80020003
	s_mov_b32 m0, s88                                          // 0000000056DC: BEFC0058
	buffer_load_dwordx4 v4, s[20:23], 0 idxen lds              // 0000000056E0: E05D2000 80050004
	s_mov_b32 m0, s76                                          // 0000000056E8: BEFC004C
	buffer_load_dword v11, s[24:27], 0 idxen lds               // 0000000056EC: E0512000 8006000B
	v_mul_f32_e32 v104, s48, v104                              // 0000000056F4: 0AD0D030
	v_add_u32_e32 v1, s68, v1                                  // 0000000056F8: 68020244
	v_add_u32_e32 v2, s68, v2                                  // 0000000056FC: 68040444
	v_add_u32_e32 v3, s68, v3                                  // 000000005700: 68060644
	v_add_u32_e32 v4, s97, v4                                  // 000000005704: 68080861
	v_add_u32_e32 v11, s69, v11                                // 000000005708: 68161645
	v_mov_b32_dpp v107, v104 quad_perm:[3,3,3,3] row_mask:0xf bank_mask:0xf// 00000000570C: 7ED602FA FF00FF68
	v_mov_b32_dpp v106, v104 quad_perm:[2,2,2,2] row_mask:0xf bank_mask:0xf// 000000005714: 7ED402FA FF00AA68
	v_mov_b32_dpp v105, v104 quad_perm:[1,1,1,1] row_mask:0xf bank_mask:0xf// 00000000571C: 7ED202FA FF005568
	v_mov_b32_dpp v104, v104 quad_perm:[0,0,0,0] row_mask:0xf bank_mask:0xf// 000000005724: 7ED002FA FF000068
	s_cmp_lt_i32 s46, 2                                        // 00000000572C: BF04822E
	s_cbranch_scc0 label_0D80                                  // 000000005730: BF8407A4
	s_nop 0                                                    // 000000005734: BF800000
	s_nop 0                                                    // 000000005738: BF800000

000000000000573c <label_05CF>:
	s_waitcnt lgkmcnt(2)                                       // 00000000573C: BF8CC27F
	v_mfma_f32_16x16x32_f16 v[36:39], v[224:227], a[0:3], 0    // 000000005740: D3D40024 120201E0
	ds_read_b128 a[48:51], v17 offset:49152                    // 000000005748: DBFEC000 30000011
	ds_read_b128 a[52:55], v17 offset:50176                    // 000000005750: DBFEC400 34000011
	v_mfma_f32_16x16x32_f16 v[36:39], v[228:231], a[4:7], v[36:39]// 000000005758: D3D40024 149209E4
	v_add_u32_e32 v7, s66, v7                                  // 000000005760: 680E0E42
	v_add_u32_e32 v8, s66, v8                                  // 000000005764: 68101042
	v_mfma_f32_16x16x32_f16 v[36:39], v[232:235], a[8:11], v[36:39]// 000000005768: D3D40024 149211E8
	ds_read_b128 a[56:59], v17 offset:51200                    // 000000005770: DBFEC800 38000011
	ds_read_b128 a[60:63], v17 offset:52224                    // 000000005778: DBFECC00 3C000011
	v_mfma_f32_16x16x32_f16 v[36:39], v[236:239], a[12:15], v[36:39]// 000000005780: D3D40024 149219EC
	v_add_u32_e32 v9, s66, v9                                  // 000000005788: 68121242
	v_add_u32_e32 v10, s66, v10                                // 00000000578C: 68141442
	v_mfma_f32_16x16x32_f16 v[36:39], v[240:243], a[16:19], v[36:39]// 000000005790: D3D40024 149221F0
	ds_read_b128 v[248:251], v17 offset:53248                  // 000000005798: D9FED000 F8000011
	ds_read_b128 v[252:255], v17 offset:54272                  // 0000000057A0: D9FED400 FC000011
	v_mfma_f32_16x16x32_f16 v[36:39], v[244:247], a[20:23], v[36:39]// 0000000057A8: D3D40024 149229F4
	v_mul_f32_e32 v114, s47, v114                              // 0000000057B0: 0AE4E42F
	v_mul_f32_e32 v115, s47, v115                              // 0000000057B4: 0AE6E62F
	v_mfma_f32_16x16x32_f16 v[40:43], v[224:227], a[24:27], 0  // 0000000057B8: D3D40028 120231E0
	ds_read_b128 v[72:75], v12 offset:18432                    // 0000000057C0: D9FE4800 4800000C
	ds_read_b128 v[76:79], v12 offset:19456                    // 0000000057C8: D9FE4C00 4C00000C
	v_mfma_f32_16x16x32_f16 v[40:43], v[228:231], a[28:31], v[40:43]// 0000000057D0: D3D40028 14A239E4
	v_mul_f32_e32 v116, s47, v116                              // 0000000057D8: 0AE8E82F
	v_mul_f32_e32 v117, s47, v117                              // 0000000057DC: 0AEAEA2F
	v_mfma_f32_16x16x32_f16 v[40:43], v[232:235], a[32:35], v[40:43]// 0000000057E0: D3D40028 14A241E8
	ds_read_b128 v[80:83], v12 offset:20480                    // 0000000057E8: D9FE5000 5000000C
	ds_read_b128 v[84:87], v12 offset:21504                    // 0000000057F0: D9FE5400 5400000C
	v_mfma_f32_16x16x32_f16 v[40:43], v[236:239], a[36:39], v[40:43]// 0000000057F8: D3D40028 14A249EC
	v_mul_f32_e32 v118, s47, v118                              // 000000005800: 0AECEC2F
	v_mul_f32_e32 v119, s47, v119                              // 000000005804: 0AEEEE2F
	buffer_atomic_add_f32 v108, v7, s[32:35], 0 offen          // 000000005808: E1341000 80086C07
	s_waitcnt lgkmcnt(10)                                      // 000000005810: BF8CCA7F
	v_mfma_f32_16x16x32_f16 v[40:43], v[240:243], a[40:43], v[40:43]// 000000005814: D3D40028 14A251F0
	ds_read_b64_tr_b16 v[88:89], v13 offset:18432              // 00000000581C: D9C64800 5800000D
	ds_read_b64_tr_b16 v[90:91], v13 offset:18688              // 000000005824: D9C64900 5A00000D
	v_mfma_f32_16x16x32_f16 v[40:43], v[244:247], a[44:47], v[40:43]// 00000000582C: D3D40028 14A259F4
	v_fma_f32 v36, v36, s57, -v104                             // 000000005834: D1CB0024 85A07324
	v_fma_f32 v37, v37, s57, -v105                             // 00000000583C: D1CB0025 85A47325
	s_waitcnt lgkmcnt(10)                                      // 000000005844: BF8CCA7F
	v_mfma_f32_16x16x32_f16 v[44:47], v[224:227], a[48:51], 0  // 000000005848: D3D4002C 120261E0
	ds_read_b64_tr_b16 v[92:93], v13 offset:19456              // 000000005850: D9C64C00 5C00000D
	ds_read_b64_tr_b16 v[94:95], v13 offset:19712              // 000000005858: D9C64D00 5E00000D
	v_mfma_f32_16x16x32_f16 v[44:47], v[228:231], a[52:55], v[44:47]// 000000005860: D3D4002C 14B269E4
	v_fma_f32 v38, v38, s57, -v106                             // 000000005868: D1CB0026 85A87326
	v_fma_f32 v39, v39, s57, -v107                             // 000000005870: D1CB0027 85AC7327
	s_waitcnt lgkmcnt(10)                                      // 000000005878: BF8CCA7F
	v_mfma_f32_16x16x32_f16 v[44:47], v[232:235], a[56:59], v[44:47]// 00000000587C: D3D4002C 14B271E8
	ds_read_b64_tr_b16 v[96:97], v13 offset:20480              // 000000005884: D9C65000 6000000D
	ds_read_b64_tr_b16 v[98:99], v13 offset:20736              // 00000000588C: D9C65100 6200000D
	v_mfma_f32_16x16x32_f16 v[44:47], v[236:239], a[60:63], v[44:47]// 000000005894: D3D4002C 14B279EC
	v_fma_f32 v40, v40, s57, -v104                             // 00000000589C: D1CB0028 85A07328
	v_fma_f32 v41, v41, s57, -v105                             // 0000000058A4: D1CB0029 85A47329
	buffer_atomic_add_f32 v109, v8, s[32:35], 0 offen          // 0000000058AC: E1341000 80086D08
	s_waitcnt lgkmcnt(10)                                      // 0000000058B4: BF8CCA7F
	v_mfma_f32_16x16x32_f16 v[44:47], v[240:243], v[248:251], v[44:47]// 0000000058B8: D3D4002C 04B3F1F0
	ds_read_b64_tr_b16 v[100:101], v13 offset:21504            // 0000000058C0: D9C65400 6400000D
	ds_read_b64_tr_b16 v[102:103], v13 offset:21760            // 0000000058C8: D9C65500 6600000D
	v_mfma_f32_16x16x32_f16 v[44:47], v[244:247], v[252:255], v[44:47]// 0000000058D0: D3D4002C 04B3F9F4
	v_fma_f32 v42, v42, s57, -v106                             // 0000000058D8: D1CB002A 85A8732A
	v_fma_f32 v43, v43, s57, -v107                             // 0000000058E0: D1CB002B 85AC732B
	s_cmp_lt_i32 s98, 0xc0                                     // 0000000058E8: BF04FF62 000000C0
	s_cbranch_scc0 label_068F                                  // 0000000058F0: BF84004D
	s_cmp_le_i32 s98, 64                                       // 0000000058F4: BF05C062
	s_cbranch_scc1 label_0646                                  // 0000000058F8: BF850007
	s_cmp_le_i32 s98, 0x80                                     // 0000000058FC: BF05FF62 00000080
	s_cbranch_scc1 label_065E                                  // 000000005904: BF850017
	s_cmp_lt_i32 s98, 0xc0                                     // 000000005908: BF04FF62 000000C0
	s_cbranch_scc1 label_0676                                  // 000000005910: BF85002C
	s_branch label_068F                                        // 000000005914: BF820044

0000000000005918 <label_0646>:
	s_mov_b32 s60, 0                                           // 000000005918: BEBC0080
	v_and_b32_e32 v32, 15, v0                                  // 00000000591C: 2640008F
	v_add_u32_e64 v32, v32, s60                                // 000000005920: D1340020 00007920
	v_mul_i32_i24_e64 v33, s46, 16                             // 000000005928: D1060021 0001202E
	v_add_u32_e32 v32, v32, v33                                // 000000005930: 68404320
	v_cmp_lt_u32_e64 s[60:61], v32, s98                        // 000000005934: D0C9003C 0000C520
	s_nop 1                                                    // 00000000593C: BF800001
	v_cndmask_b32_e64 v36, v127, v36, s[60:61]                 // 000000005940: D1000024 00F2497F
	v_cndmask_b32_e64 v37, v127, v37, s[60:61]                 // 000000005948: D1000025 00F24B7F
	v_cndmask_b32_e64 v38, v127, v38, s[60:61]                 // 000000005950: D1000026 00F24D7F
	v_cndmask_b32_e64 v39, v127, v39, s[60:61]                 // 000000005958: D1000027 00F24F7F
	s_branch label_0671                                        // 000000005960: BF820013

0000000000005964 <label_065E>:
	s_mov_b32 s60, 64                                          // 000000005964: BEBC00C0
	v_and_b32_e32 v32, 15, v0                                  // 000000005968: 2640008F
	v_add_u32_e64 v32, v32, s60                                // 00000000596C: D1340020 00007920
	v_mul_i32_i24_e64 v33, s46, 16                             // 000000005974: D1060021 0001202E
	v_add_u32_e32 v32, v32, v33                                // 00000000597C: 68404320
	v_cmp_lt_u32_e64 s[60:61], v32, s98                        // 000000005980: D0C9003C 0000C520
	s_nop 1                                                    // 000000005988: BF800001
	v_cndmask_b32_e64 v40, v127, v40, s[60:61]                 // 00000000598C: D1000028 00F2517F
	v_cndmask_b32_e64 v41, v127, v41, s[60:61]                 // 000000005994: D1000029 00F2537F
	v_cndmask_b32_e64 v42, v127, v42, s[60:61]                 // 00000000599C: D100002A 00F2557F
	v_cndmask_b32_e64 v43, v127, v43, s[60:61]                 // 0000000059A4: D100002B 00F2577F
	s_branch label_068A                                        // 0000000059AC: BF820019

00000000000059b0 <label_0671>:
	v_mov_b32_e32 v40, v127                                    // 0000000059B0: 7E50037F
	v_mov_b32_e32 v41, v127                                    // 0000000059B4: 7E52037F
	v_mov_b32_e32 v42, v127                                    // 0000000059B8: 7E54037F
	v_mov_b32_e32 v43, v127                                    // 0000000059BC: 7E56037F
	s_branch label_068A                                        // 0000000059C0: BF820014

00000000000059c4 <label_0676>:
	s_mov_b32 s60, 0x80                                        // 0000000059C4: BEBC00FF 00000080
	v_and_b32_e32 v32, 15, v0                                  // 0000000059CC: 2640008F
	v_add_u32_e64 v32, v32, s60                                // 0000000059D0: D1340020 00007920
	v_mul_i32_i24_e64 v33, s46, 16                             // 0000000059D8: D1060021 0001202E
	v_add_u32_e32 v32, v32, v33                                // 0000000059E0: 68404320
	v_cmp_lt_u32_e64 s[60:61], v32, s98                        // 0000000059E4: D0C9003C 0000C520
	s_nop 1                                                    // 0000000059EC: BF800001
	v_cndmask_b32_e64 v44, v127, v44, s[60:61]                 // 0000000059F0: D100002C 00F2597F
	v_cndmask_b32_e64 v45, v127, v45, s[60:61]                 // 0000000059F8: D100002D 00F25B7F
	v_cndmask_b32_e64 v46, v127, v46, s[60:61]                 // 000000005A00: D100002E 00F25D7F
	v_cndmask_b32_e64 v47, v127, v47, s[60:61]                 // 000000005A08: D100002F 00F25F7F
	s_branch label_068F                                        // 000000005A10: BF820005

0000000000005a14 <label_068A>:
	v_mov_b32_e32 v44, v127                                    // 000000005A14: 7E58037F
	v_mov_b32_e32 v45, v127                                    // 000000005A18: 7E5A037F
	v_mov_b32_e32 v46, v127                                    // 000000005A1C: 7E5C037F
	v_mov_b32_e32 v47, v127                                    // 000000005A20: 7E5E037F
	s_branch label_068F                                        // 000000005A24: BF820000

0000000000005a28 <label_068F>:
	s_waitcnt lgkmcnt(8)                                       // 000000005A28: BF8CC87F
	v_mfma_f32_16x16x32_f16 v[60:63], v[72:75], a[64:67], 0    // 000000005A2C: D3D4003C 12028148
	v_exp_f32_e32 v36, v36                                     // 000000005A34: 7E484124
	v_exp_f32_e32 v37, v37                                     // 000000005A38: 7E4A4125
	v_mfma_f32_16x16x32_f16 v[60:63], v[76:79], a[68:71], v[60:63]// 000000005A3C: D3D4003C 14F2894C
	v_exp_f32_e32 v38, v38                                     // 000000005A44: 7E4C4126
	v_exp_f32_e32 v39, v39                                     // 000000005A48: 7E4E4127
	v_mfma_f32_16x16x32_f16 v[60:63], v[80:83], a[72:75], v[60:63]// 000000005A4C: D3D4003C 14F29150
	ds_read_b64_tr_b16 v[224:225], v13                         // 000000005A54: D9C60000 E000000D
	ds_read_b64_tr_b16 v[226:227], v13 offset:256              // 000000005A5C: D9C60100 E200000D
	ds_read_b64_tr_b16 v[228:229], v13 offset:1024             // 000000005A64: D9C60400 E400000D
	ds_read_b64_tr_b16 v[230:231], v13 offset:1280             // 000000005A6C: D9C60500 E600000D
	v_mfma_f32_16x16x32_f16 v[60:63], v[84:87], a[76:79], v[60:63]// 000000005A74: D3D4003C 14F29954
	v_fma_f32 v44, v44, s57, -v104                             // 000000005A7C: D1CB002C 85A0732C
	v_fma_f32 v45, v45, s57, -v105                             // 000000005A84: D1CB002D 85A4732D
	v_exp_f32_e32 v40, v40                                     // 000000005A8C: 7E504128
	v_exp_f32_e32 v41, v41                                     // 000000005A90: 7E524129
	buffer_atomic_add_f32 v110, v9, s[32:35], 0 offen          // 000000005A94: E1341000 80086E09
	v_mfma_f32_16x16x32_f16 v[64:67], v[72:75], a[80:83], 0    // 000000005A9C: D3D40040 1202A148
	ds_read_b64_tr_b16 v[232:233], v13 offset:2048             // 000000005AA4: D9C60800 E800000D
	ds_read_b64_tr_b16 v[234:235], v13 offset:2304             // 000000005AAC: D9C60900 EA00000D
	ds_read_b64_tr_b16 v[236:237], v13 offset:3072             // 000000005AB4: D9C60C00 EC00000D
	ds_read_b64_tr_b16 v[238:239], v13 offset:3328             // 000000005ABC: D9C60D00 EE00000D
	v_mfma_f32_16x16x32_f16 v[64:67], v[76:79], a[84:87], v[64:67]// 000000005AC4: D3D40040 1502A94C
	v_fma_f32 v46, v46, s57, -v106                             // 000000005ACC: D1CB002E 85A8732E
	v_fma_f32 v47, v47, s57, -v107                             // 000000005AD4: D1CB002F 85AC732F
	v_exp_f32_e32 v42, v42                                     // 000000005ADC: 7E54412A
	v_exp_f32_e32 v43, v43                                     // 000000005AE0: 7E56412B
	v_mfma_f32_16x16x32_f16 v[64:67], v[80:83], a[88:91], v[64:67]// 000000005AE4: D3D40040 1502B150
	v_exp_f32_e32 v44, v44                                     // 000000005AEC: 7E58412C
	v_exp_f32_e32 v45, v45                                     // 000000005AF0: 7E5A412D
	v_mfma_f32_16x16x32_f16 v[64:67], v[84:87], a[92:95], v[64:67]// 000000005AF4: D3D40040 1502B954
	v_cvt_pk_f16_f32 v120, v36, v37                            // 000000005AFC: D2670078 00024B24
	v_cvt_pk_f16_f32 v121, v38, v39                            // 000000005B04: D2670079 00024F26
	v_cvt_pk_f16_f32 v122, v40, v41                            // 000000005B0C: D267007A 00025328
	v_cvt_pk_f16_f32 v123, v42, v43                            // 000000005B14: D267007B 0002572A
	v_mfma_f32_16x16x32_f16 v[68:71], v[72:75], a[96:99], 0    // 000000005B1C: D3D40044 1202C148
	v_exp_f32_e32 v46, v46                                     // 000000005B24: 7E5C412E
	v_exp_f32_e32 v47, v47                                     // 000000005B28: 7E5E412F
	v_mfma_f32_16x16x32_f16 v[68:71], v[76:79], a[100:103], v[68:71]// 000000005B2C: D3D40044 1512C94C
	v_permlane16_swap_b32_e32 v120, v122                       // 000000005B34: 7EF0B37A
	v_permlane16_swap_b32_e32 v121, v123                       // 000000005B38: 7EF2B37B
	v_mfma_f32_16x16x32_f16 v[68:71], v[80:83], a[104:107], v[68:71]// 000000005B3C: D3D40044 1512D150
	ds_read_b64_tr_b16 v[240:241], v13 offset:4096             // 000000005B44: D9C61000 F000000D
	ds_read_b64_tr_b16 v[242:243], v13 offset:4352             // 000000005B4C: D9C61100 F200000D
	ds_read_b64_tr_b16 v[244:245], v13 offset:5120             // 000000005B54: D9C61400 F400000D
	ds_read_b64_tr_b16 v[246:247], v13 offset:5376             // 000000005B5C: D9C61500 F600000D
	v_mfma_f32_16x16x32_f16 v[68:71], v[84:87], a[108:111], v[68:71]// 000000005B64: D3D40044 1512D954
	v_cvt_pk_f16_f32 v124, v44, v45                            // 000000005B6C: D267007C 00025B2C
	v_cvt_pk_f16_f32 v125, v46, v47                            // 000000005B74: D267007D 00025F2E
	buffer_atomic_add_f32 v111, v10, s[32:35], 0 offen         // 000000005B7C: E1341000 80086F0A
	s_waitcnt lgkmcnt(12)                                      // 000000005B84: BF8CCC7F
	v_mfma_f32_32x32x16_f16 v[128:143], v[88:91], v[120:123], v[128:143]// 000000005B88: D3D50080 0602F158
	ds_read_b64_tr_b16 a[0:1], v19                             // 000000005B90: DBC60000 00000013
	ds_read_b64_tr_b16 a[2:3], v19 offset:256                  // 000000005B98: DBC60100 02000013
	ds_read_b64_tr_b16 a[4:5], v19 offset:12288                // 000000005BA0: DBC63000 04000013
	ds_read_b64_tr_b16 a[6:7], v19 offset:12544                // 000000005BA8: DBC63100 06000013
	ds_read_b64_tr_b16 a[8:9], v19 offset:24576                // 000000005BB0: DBC66000 08000013
	buffer_atomic_add_f32 v112, v7, s[32:35], 0 offen offset:64// 000000005BB8: E1341040 80087007
	v_mfma_f32_32x32x16_f16 v[144:159], v[92:95], v[120:123], v[144:159]// 000000005BC0: D3D50090 0642F15C
	v_subrev_f32_dpp v60, v126, v60 quad_perm:[0,0,0,0] row_mask:0xf bank_mask:0xf// 000000005BC8: 067878FA FF00007E
	v_subrev_f32_dpp v61, v126, v61 quad_perm:[1,1,1,1] row_mask:0xf bank_mask:0xf// 000000005BD0: 067A7AFA FF00557E
	v_subrev_f32_dpp v62, v126, v62 quad_perm:[2,2,2,2] row_mask:0xf bank_mask:0xf// 000000005BD8: 067C7CFA FF00AA7E
	v_subrev_f32_dpp v63, v126, v63 quad_perm:[3,3,3,3] row_mask:0xf bank_mask:0xf// 000000005BE0: 067E7EFA FF00FF7E
	v_subrev_f32_dpp v64, v126, v64 quad_perm:[0,0,0,0] row_mask:0xf bank_mask:0xf// 000000005BE8: 068080FA FF00007E
	v_subrev_f32_dpp v65, v126, v65 quad_perm:[1,1,1,1] row_mask:0xf bank_mask:0xf// 000000005BF0: 068282FA FF00557E
	v_subrev_f32_dpp v66, v126, v66 quad_perm:[2,2,2,2] row_mask:0xf bank_mask:0xf// 000000005BF8: 068484FA FF00AA7E
	v_subrev_f32_dpp v67, v126, v67 quad_perm:[3,3,3,3] row_mask:0xf bank_mask:0xf// 000000005C00: 068686FA FF00FF7E
	v_mul_f32_e32 v60, v36, v60                                // 000000005C08: 0A787924
	v_mul_f32_e32 v61, v37, v61                                // 000000005C0C: 0A7A7B25
	v_mul_f32_e32 v62, v38, v62                                // 000000005C10: 0A7C7D26
	v_mul_f32_e32 v63, v39, v63                                // 000000005C14: 0A7E7F27
	v_mfma_f32_32x32x16_f16 v[160:175], v[96:99], v[120:123], v[160:175]// 000000005C18: D3D500A0 0682F160
	ds_read_b64_tr_b16 a[10:11], v19 offset:24832              // 000000005C20: DBC66100 0A000013
	ds_read_b64_tr_b16 a[12:13], v19 offset:36864              // 000000005C28: DBC69000 0C000013
	ds_read_b64_tr_b16 a[14:15], v19 offset:37120              // 000000005C30: DBC69100 0E000013
	ds_read_b64_tr_b16 a[16:17], v19 offset:49152              // 000000005C38: DBC6C000 10000013
	ds_read_b64_tr_b16 a[18:19], v19 offset:49408              // 000000005C40: DBC6C100 12000013
	ds_read_b32 v104, v16 offset:38144                         // 000000005C48: D86C9500 68000010
	v_mfma_f32_32x32x16_f16 v[176:191], v[100:103], v[120:123], v[176:191]// 000000005C50: D3D500B0 06C2F164
	v_mul_f32_e32 v64, v40, v64                                // 000000005C58: 0A808128
	v_mul_f32_e32 v65, v41, v65                                // 000000005C5C: 0A828329
	v_mul_f32_e32 v66, v42, v66                                // 000000005C60: 0A84852A
	v_mul_f32_e32 v67, v43, v67                                // 000000005C64: 0A86872B
	v_permlane16_swap_b32_e32 v88, v90                         // 000000005C68: 7EB0B35A
	v_permlane16_swap_b32_e32 v89, v91                         // 000000005C6C: 7EB2B35B
	v_cvt_pk_f16_f32 v60, v60, v61                             // 000000005C70: D267003C 00027B3C
	v_cvt_pk_f16_f32 v61, v62, v63                             // 000000005C78: D267003D 00027F3E
	v_cvt_pk_f16_f32 v62, v64, v65                             // 000000005C80: D267003E 00028340
	v_cvt_pk_f16_f32 v63, v66, v67                             // 000000005C88: D267003F 00028742
	v_permlane16_swap_b32_e32 v92, v94                         // 000000005C90: 7EB8B35E
	v_permlane16_swap_b32_e32 v93, v95                         // 000000005C94: 7EBAB35F
	v_mfma_f32_16x16x16_f16 v[192:195], v[88:89], v[124:125], v[192:195]// 000000005C98: D3CD00C0 0702F958
	buffer_atomic_add_f32 v113, v8, s[32:35], 0 offen offset:64// 000000005CA0: E1341040 80087108
	ds_write_b64 v15, v[60:61] offset:30720                    // 000000005CA8: D89A7800 00003C0F
	ds_write_b64 v15, v[62:63] offset:33024                    // 000000005CB0: D89A8100 00003E0F
	v_mfma_f32_16x16x16_f16 v[196:199], v[90:91], v[124:125], v[196:199]// 000000005CB8: D3CD00C4 0712F95A
	v_permlane16_swap_b32_e32 v96, v98                         // 000000005CC0: 7EC0B362
	v_permlane16_swap_b32_e32 v97, v99                         // 000000005CC4: 7EC2B363
	v_subrev_f32_dpp v68, v126, v68 quad_perm:[0,0,0,0] row_mask:0xf bank_mask:0xf// 000000005CC8: 068888FA FF00007E
	v_subrev_f32_dpp v69, v126, v69 quad_perm:[1,1,1,1] row_mask:0xf bank_mask:0xf// 000000005CD0: 068A8AFA FF00557E
	v_mfma_f32_16x16x16_f16 v[200:203], v[92:93], v[124:125], v[200:203]// 000000005CD8: D3CD00C8 0722F95C
	v_permlane16_swap_b32_e32 v100, v102                       // 000000005CE0: 7EC8B366
	v_permlane16_swap_b32_e32 v101, v103                       // 000000005CE4: 7ECAB367
	v_subrev_f32_dpp v70, v126, v70 quad_perm:[2,2,2,2] row_mask:0xf bank_mask:0xf// 000000005CE8: 068C8CFA FF00AA7E
	v_subrev_f32_dpp v71, v126, v71 quad_perm:[3,3,3,3] row_mask:0xf bank_mask:0xf// 000000005CF0: 068E8EFA FF00FF7E
	v_mfma_f32_16x16x16_f16 v[204:207], v[94:95], v[124:125], v[204:207]// 000000005CF8: D3CD00CC 0732F95E
	v_permlane16_swap_b32_e32 v60, v62                         // 000000005D00: 7E78B33E
	v_permlane16_swap_b32_e32 v61, v63                         // 000000005D04: 7E7AB33F
	v_mfma_f32_16x16x16_f16 v[208:211], v[96:97], v[124:125], v[208:211]// 000000005D08: D3CD00D0 0742F960
	ds_read_b64_tr_b16 a[20:21], v19 offset:61440              // 000000005D10: DBC6F000 14000013
	ds_read_b64_tr_b16 a[22:23], v19 offset:61696              // 000000005D18: DBC6F100 16000013
	ds_read_b64_tr_b16 a[24:25], v20                           // 000000005D20: DBC60000 18000014
	v_mfma_f32_16x16x16_f16 v[212:215], v[98:99], v[124:125], v[212:215]// 000000005D28: D3CD00D4 0752F962
	v_mul_f32_e32 v68, v44, v68                                // 000000005D30: 0A88892C
	v_mul_f32_e32 v69, v45, v69                                // 000000005D34: 0A8A8B2D
	v_mul_f32_e32 v70, v46, v70                                // 000000005D38: 0A8C8D2E
	v_mfma_f32_16x16x16_f16 v[216:219], v[100:101], v[124:125], v[216:219]// 000000005D3C: D3CD00D8 0762F964
	ds_read_b32 v126, v16 offset:38400                         // 000000005D44: D86C9600 7E000010
	ds_read_b64_tr_b16 a[26:27], v20 offset:256                // 000000005D4C: DBC60100 1A000014
	ds_read_b64_tr_b16 a[28:29], v20 offset:12288              // 000000005D54: DBC63000 1C000014
	v_mfma_f32_16x16x16_f16 v[220:223], v[102:103], v[124:125], v[220:223]// 000000005D5C: D3CD00DC 0772F966
	v_mul_f32_e32 v71, v47, v71                                // 000000005D64: 0A8E8F2F
	v_cvt_pk_f16_f32 v64, v68, v69                             // 000000005D68: D2670040 00028B44
	v_cvt_pk_f16_f32 v65, v70, v71                             // 000000005D70: D2670041 00028F46
	s_waitcnt lgkmcnt(8)                                       // 000000005D78: BF8CC87F
	v_mfma_f32_32x32x16_f16 a[112:127], v[224:227], v[60:63], a[112:127]// 000000005D7C: D3D58070 05C279E0
	ds_read_b64_tr_b16 a[30:31], v20 offset:12544              // 000000005D84: DBC63100 1E000014
	ds_write_b64 v15, v[64:65] offset:35328                    // 000000005D8C: D89A8A00 0000400F
	ds_read_b64_tr_b16 a[32:33], v20 offset:24576              // 000000005D94: DBC66000 20000014
	ds_read_b64_tr_b16 a[34:35], v20 offset:24832              // 000000005D9C: DBC66100 22000014
	v_mfma_f32_32x32x16_f16 a[128:143], v[228:231], v[60:63], a[128:143]// 000000005DA4: D3D58080 060279E4
	v_mul_f32_e32 v104, s48, v104                              // 000000005DAC: 0AD0D030
	buffer_atomic_add_f32 v114, v9, s[32:35], 0 offen offset:64// 000000005DB0: E1341040 80087209
	v_mfma_f32_32x32x16_f16 a[144:159], v[232:235], v[60:63], a[144:159]// 000000005DB8: D3D58090 064279E8
	ds_read_b64_tr_b16 a[36:37], v20 offset:36864              // 000000005DC0: DBC69000 24000014
	ds_read_b64_tr_b16 a[38:39], v20 offset:37120              // 000000005DC8: DBC69100 26000014
	ds_read_b64_tr_b16 a[40:41], v20 offset:49152              // 000000005DD0: DBC6C000 28000014
	ds_read_b64_tr_b16 a[42:43], v20 offset:49408              // 000000005DD8: DBC6C100 2A000014
	ds_read_b64_tr_b16 a[44:45], v20 offset:61440              // 000000005DE0: DBC6F000 2C000014
	ds_read_b64_tr_b16 a[46:47], v20 offset:61696              // 000000005DE8: DBC6F100 2E000014
	v_mfma_f32_32x32x16_f16 a[160:175], v[236:239], v[60:63], a[160:175]// 000000005DF0: D3D580A0 068279EC
	.long 0x7fc0b3e2                                           // 000000005DF8: 7FC0B3E2
	.long 0x7fc2b3e3                                           // 000000005DFC: 7FC2B3E3
	buffer_atomic_add_f32 v115, v10, s[32:35], 0 offen offset:64// 000000005E00: E1341040 8008730A
	s_waitcnt lgkmcnt(8)                                       // 000000005E08: BF8CC87F
	s_barrier                                                  // 000000005E0C: BF8A0000
	v_mfma_f32_32x32x16_f16 a[176:191], v[240:243], v[60:63], a[176:191]// 000000005E10: D3D580B0 06C279F0
	ds_read_b64_tr_b16 v[36:37], v14 offset:30720              // 000000005E18: D9C67800 2400000E
	ds_read_b64_tr_b16 v[38:39], v14 offset:30752              // 000000005E20: D9C67820 2600000E
	ds_read_b64_tr_b16 v[40:41], v14 offset:31872              // 000000005E28: D9C67C80 2800000E
	ds_read_b64_tr_b16 v[42:43], v14 offset:31904              // 000000005E30: D9C67CA0 2A00000E
	ds_read_b64_tr_b16 v[44:45], v14 offset:33024              // 000000005E38: D9C68100 2C00000E
	ds_read_b64_tr_b16 v[46:47], v14 offset:33056              // 000000005E40: D9C68120 2E00000E
	v_mfma_f32_32x32x16_f16 a[192:207], v[244:247], v[60:63], a[192:207]// 000000005E48: D3D580C0 070279F4
	.long 0x7fc8b3e6                                           // 000000005E50: 7FC8B3E6
	.long 0x7fcab3e7                                           // 000000005E54: 7FCAB3E7
	v_mov_b32_dpp v107, v104 quad_perm:[3,3,3,3] row_mask:0xf bank_mask:0xf// 000000005E58: 7ED602FA FF00FF68
	v_mov_b32_dpp v106, v104 quad_perm:[2,2,2,2] row_mask:0xf bank_mask:0xf// 000000005E60: 7ED402FA FF00AA68
	buffer_atomic_add_f32 v116, v7, s[32:35], 0 offen offset:128// 000000005E68: E1341080 80087407
	v_mfma_f32_16x16x16_f16 a[208:211], v[224:225], v[64:65], a[208:211]// 000000005E70: D3CD80D0 074281E0
	ds_read_b64_tr_b16 v[48:49], v14 offset:34176              // 000000005E78: D9C68580 3000000E
	ds_read_b64_tr_b16 v[50:51], v14 offset:34208              // 000000005E80: D9C685A0 3200000E
	ds_read_b64_tr_b16 v[52:53], v14 offset:35328              // 000000005E88: D9C68A00 3400000E
	v_mfma_f32_16x16x16_f16 a[212:215], v[226:227], v[64:65], a[212:215]// 000000005E90: D3CD80D4 075281E2
	.long 0x7fd0b3ea                                           // 000000005E98: 7FD0B3EA
	.long 0x7fd2b3eb                                           // 000000005E9C: 7FD2B3EB
	v_mfma_f32_16x16x16_f16 a[216:219], v[228:229], v[64:65], a[216:219]// 000000005EA0: D3CD80D8 076281E4
	ds_read_b64_tr_b16 v[54:55], v14 offset:35360              // 000000005EA8: D9C68A20 3600000E
	ds_read_b64_tr_b16 v[56:57], v14 offset:36480              // 000000005EB0: D9C68E80 3800000E
	ds_read_b64_tr_b16 v[58:59], v14 offset:36512              // 000000005EB8: D9C68EA0 3A00000E
	v_mfma_f32_16x16x16_f16 a[220:223], v[230:231], v[64:65], a[220:223]// 000000005EC0: D3CD80DC 077281E6
	v_permlane16_swap_b32_e32 v236, v238                       // 000000005EC8: 7FD8B3EE
	v_permlane16_swap_b32_e32 v237, v239                       // 000000005ECC: 7FDAB3EF
	buffer_atomic_add_f32 v117, v8, s[32:35], 0 offen offset:128// 000000005ED0: E1341080 80087508
	v_mfma_f32_16x16x16_f16 a[224:227], v[232:233], v[64:65], a[224:227]// 000000005ED8: D3CD80E0 078281E8
	ds_read_b64_tr_b16 a[48:49], v21                           // 000000005EE0: DBC60000 30000015
	ds_read_b64_tr_b16 a[50:51], v21 offset:256                // 000000005EE8: DBC60100 32000015
	ds_read_b64_tr_b16 a[52:53], v21 offset:12288              // 000000005EF0: DBC63000 34000015
	v_mfma_f32_16x16x16_f16 a[228:231], v[234:235], v[64:65], a[228:231]// 000000005EF8: D3CD80E4 079281EA
	v_permlane16_swap_b32_e32 v240, v242                       // 000000005F00: 7FE0B3F2
	v_permlane16_swap_b32_e32 v241, v243                       // 000000005F04: 7FE2B3F3
	v_mfma_f32_16x16x16_f16 a[232:235], v[236:237], v[64:65], a[232:235]// 000000005F08: D3CD80E8 07A281EC
	ds_read_b64_tr_b16 a[54:55], v21 offset:12544              // 000000005F10: DBC63100 36000015
	ds_read_b64_tr_b16 a[56:57], v21 offset:24576              // 000000005F18: DBC66000 38000015
	ds_read_b64_tr_b16 a[58:59], v21 offset:24832              // 000000005F20: DBC66100 3A000015
	v_mfma_f32_16x16x16_f16 a[236:239], v[238:239], v[64:65], a[236:239]// 000000005F28: D3CD80EC 07B281EE
	v_permlane16_swap_b32_e32 v244, v246                       // 000000005F30: 7FE8B3F6
	v_permlane16_swap_b32_e32 v245, v247                       // 000000005F34: 7FEAB3F7
	v_mfma_f32_16x16x16_f16 a[240:243], v[240:241], v[64:65], a[240:243]// 000000005F38: D3CD80F0 07C281F0
	ds_read_b64_tr_b16 a[60:61], v21 offset:36864              // 000000005F40: DBC69000 3C000015
	ds_read_b64_tr_b16 a[62:63], v21 offset:37120              // 000000005F48: DBC69100 3E000015
	ds_read_b64_tr_b16 v[248:249], v21 offset:49152            // 000000005F50: D9C6C000 F8000015
	v_mfma_f32_16x16x16_f16 a[244:247], v[242:243], v[64:65], a[244:247]// 000000005F58: D3CD80F4 07D281F2
	v_mov_b32_dpp v105, v104 quad_perm:[1,1,1,1] row_mask:0xf bank_mask:0xf// 000000005F60: 7ED202FA FF005568
	buffer_atomic_add_f32 v118, v9, s[32:35], 0 offen offset:128// 000000005F68: E1341080 80087609
	v_mfma_f32_16x16x16_f16 a[248:251], v[244:245], v[64:65], a[248:251]// 000000005F70: D3CD80F8 07E281F4
	ds_read_b64_tr_b16 v[250:251], v21 offset:49408            // 000000005F78: D9C6C100 FA000015
	ds_read_b64_tr_b16 v[252:253], v21 offset:61440            // 000000005F80: D9C6F000 FC000015
	ds_read_b64_tr_b16 v[254:255], v21 offset:61696            // 000000005F88: D9C6F100 FE000015
	v_mfma_f32_16x16x16_f16 a[252:255], v[246:247], v[64:65], a[252:255]// 000000005F90: D3CD80FC 07F281F6
	v_mov_b32_dpp v104, v104 quad_perm:[0,0,0,0] row_mask:0xf bank_mask:0xf// 000000005F98: 7ED002FA FF000068
	buffer_atomic_add_f32 v119, v10, s[32:35], 0 offen offset:128// 000000005FA0: E1341080 8008770A
	s_waitcnt vmcnt(12) lgkmcnt(6)                             // 000000005FA8: BF8C067C
	s_barrier                                                  // 000000005FAC: BF8A0000
	v_mfma_f32_16x16x32_f16 v[108:111], v[36:39], a[0:3], 0    // 000000005FB0: D3D4006C 12020124
	ds_read_b128 v[224:227], v12 offset:6144                   // 000000005FB8: D9FE1800 E000000C
	ds_read_b128 v[228:231], v12 offset:7168                   // 000000005FC0: D9FE1C00 E400000C
	v_mfma_f32_16x16x32_f16 v[108:111], v[40:43], a[4:7], v[108:111]// 000000005FC8: D3D4006C 15B20928
	s_mov_b32 m0, s77                                          // 000000005FD0: BEFC004D
	buffer_load_dwordx4 v1, s[8:11], 0 idxen lds               // 000000005FD4: E05D2000 80020001
	v_mfma_f32_16x16x32_f16 v[108:111], v[44:47], a[8:11], v[108:111]// 000000005FDC: D3D4006C 15B2112C
	ds_read_b128 v[232:235], v12 offset:8192                   // 000000005FE4: D9FE2000 E800000C
	ds_read_b128 v[236:239], v12 offset:9216                   // 000000005FEC: D9FE2400 EC00000C
	v_mfma_f32_16x16x32_f16 v[108:111], v[48:51], a[12:15], v[108:111]// 000000005FF4: D3D4006C 15B21930
	s_mov_b32 m0, s78                                          // 000000005FFC: BEFC004E
	buffer_load_dword v2, s[8:11], 0 idxen lds                 // 000000006000: E0512000 80020002
	v_mfma_f32_16x16x32_f16 v[108:111], v[52:55], a[16:19], v[108:111]// 000000006008: D3D4006C 15B22134
	ds_read_b128 v[240:243], v12 offset:10240                  // 000000006010: D9FE2800 F000000C
	ds_read_b128 v[244:247], v12 offset:11264                  // 000000006018: D9FE2C00 F400000C
	v_mfma_f32_16x16x32_f16 v[108:111], v[56:59], a[20:23], v[108:111]// 000000006020: D3D4006C 15B22938
	s_mov_b32 m0, s79                                          // 000000006028: BEFC004F
	buffer_load_dword v3, s[8:11], 0 idxen lds                 // 00000000602C: E0512000 80020003
	v_mfma_f32_16x16x32_f16 v[112:115], v[36:39], a[24:27], 0  // 000000006034: D3D40070 12023124
	ds_read_b128 a[0:3], v17                                   // 00000000603C: DBFE0000 00000011
	ds_read_b128 a[4:7], v17 offset:1024                       // 000000006044: DBFE0400 04000011
	v_mfma_f32_16x16x32_f16 v[112:115], v[40:43], a[28:31], v[112:115]// 00000000604C: D3D40070 15C23928
	s_mov_b32 m0, s86                                          // 000000006054: BEFC0056
	buffer_load_dwordx4 v4, s[20:23], 0 idxen lds              // 000000006058: E05D2000 80050004
	v_mfma_f32_16x16x32_f16 v[112:115], v[44:47], a[32:35], v[112:115]// 000000006060: D3D40070 15C2412C
	ds_read_b128 a[8:11], v17 offset:2048                      // 000000006068: DBFE0800 08000011
	ds_read_b128 a[12:15], v17 offset:3072                     // 000000006070: DBFE0C00 0C000011
	v_mfma_f32_16x16x32_f16 v[112:115], v[48:51], a[36:39], v[112:115]// 000000006078: D3D40070 15C24930
	v_mul_f32_e32 v108, s47, v108                              // 000000006080: 0AD8D82F
	v_mul_f32_e32 v109, s47, v109                              // 000000006084: 0ADADA2F
	s_mov_b32 m0, s74                                          // 000000006088: BEFC004A
	buffer_load_dword v11, s[24:27], 0 idxen lds               // 00000000608C: E0512000 8006000B
	v_mfma_f32_16x16x32_f16 v[112:115], v[52:55], a[40:43], v[112:115]// 000000006094: D3D40070 15C25134
	ds_read_b128 a[16:19], v17 offset:4096                     // 00000000609C: DBFE1000 10000011
	ds_read_b128 a[20:23], v17 offset:5120                     // 0000000060A4: DBFE1400 14000011
	v_mfma_f32_16x16x32_f16 v[112:115], v[56:59], a[44:47], v[112:115]// 0000000060AC: D3D40070 15C25938
	s_add_u32 s60, 64, s59                                     // 0000000060B4: 803C3BC0
	s_cmp_lt_u32 s60, s58                                      // 0000000060B8: BF0A3A3C
	s_cselect_b32 s68, s68, 0                                  // 0000000060BC: 85448044
	s_cselect_b32 s97, s97, 0                                  // 0000000060C0: 85618061
	s_cselect_b32 s69, s69, 0                                  // 0000000060C4: 85458045
	v_mfma_f32_16x16x32_f16 v[116:119], v[36:39], a[48:51], 0  // 0000000060C8: D3D40074 12026124
	ds_read_b128 a[24:27], v17 offset:24576                    // 0000000060D0: DBFE6000 18000011
	ds_read_b128 a[28:31], v17 offset:25600                    // 0000000060D8: DBFE6400 1C000011
	v_mfma_f32_16x16x32_f16 v[116:119], v[40:43], a[52:55], v[116:119]// 0000000060E0: D3D40074 15D26928
	v_add_u32_e32 v1, s68, v1                                  // 0000000060E8: 68020244
	v_add_u32_e32 v2, s68, v2                                  // 0000000060EC: 68040444
	v_add_u32_e32 v3, s68, v3                                  // 0000000060F0: 68060644
	v_add_u32_e32 v4, s97, v4                                  // 0000000060F4: 68080861
	v_add_u32_e32 v11, s69, v11                                // 0000000060F8: 68161645
	s_waitcnt lgkmcnt(14)                                      // 0000000060FC: BF8CCE7F
	v_mfma_f32_16x16x32_f16 v[116:119], v[44:47], a[56:59], v[116:119]// 000000006100: D3D40074 15D2712C
	ds_read_b128 a[32:35], v17 offset:26624                    // 000000006108: DBFE6800 20000011
	ds_read_b128 a[36:39], v17 offset:27648                    // 000000006110: DBFE6C00 24000011
	v_mfma_f32_16x16x32_f16 v[116:119], v[48:51], a[60:63], v[116:119]// 000000006118: D3D40074 15D27930
	v_mul_f32_e32 v110, s47, v110                              // 000000006120: 0ADCDC2F
	v_mul_f32_e32 v111, s47, v111                              // 000000006124: 0ADEDE2F
	s_cmp_ge_u32 s59, 16                                       // 000000006128: BF09903B
	s_cselect_b32 s66, s67, s66                                // 00000000612C: 85424243
	v_mfma_f32_16x16x32_f16 v[116:119], v[52:55], v[248:251], v[116:119]// 000000006130: D3D40074 05D3F134
	ds_read_b128 a[40:43], v17 offset:28672                    // 000000006138: DBFE7000 28000011
	ds_read_b128 a[44:47], v17 offset:29696                    // 000000006140: DBFE7400 2C000011
	v_mfma_f32_16x16x32_f16 v[116:119], v[56:59], v[252:255], v[116:119]// 000000006148: D3D40074 05D3F938
	s_addk_i32 s59, 0x10                                       // 000000006150: B73B0010
	v_mul_f32_e32 v112, s47, v112                              // 000000006154: 0AE0E02F
	v_mul_f32_e32 v113, s47, v113                              // 000000006158: 0AE2E22F
	s_cmp_lt_i32 s59, s58                                      // 00000000615C: BF043A3B
	s_cbranch_scc0 label_0D7D                                  // 000000006160: BF840515
	s_waitcnt lgkmcnt(2)                                       // 000000006164: BF8CC27F
	v_mfma_f32_16x16x32_f16 v[36:39], v[224:227], a[0:3], 0    // 000000006168: D3D40024 120201E0
	ds_read_b128 a[48:51], v17 offset:49152                    // 000000006170: DBFEC000 30000011
	ds_read_b128 a[52:55], v17 offset:50176                    // 000000006178: DBFEC400 34000011
	v_mfma_f32_16x16x32_f16 v[36:39], v[228:231], a[4:7], v[36:39]// 000000006180: D3D40024 149209E4
	v_add_u32_e32 v7, s66, v7                                  // 000000006188: 680E0E42
	v_add_u32_e32 v8, s66, v8                                  // 00000000618C: 68101042
	v_mfma_f32_16x16x32_f16 v[36:39], v[232:235], a[8:11], v[36:39]// 000000006190: D3D40024 149211E8
	ds_read_b128 a[56:59], v17 offset:51200                    // 000000006198: DBFEC800 38000011
	ds_read_b128 a[60:63], v17 offset:52224                    // 0000000061A0: DBFECC00 3C000011
	v_mfma_f32_16x16x32_f16 v[36:39], v[236:239], a[12:15], v[36:39]// 0000000061A8: D3D40024 149219EC
	v_add_u32_e32 v9, s66, v9                                  // 0000000061B0: 68121242
	v_add_u32_e32 v10, s66, v10                                // 0000000061B4: 68141442
	v_mfma_f32_16x16x32_f16 v[36:39], v[240:243], a[16:19], v[36:39]// 0000000061B8: D3D40024 149221F0
	ds_read_b128 v[248:251], v17 offset:53248                  // 0000000061C0: D9FED000 F8000011
	ds_read_b128 v[252:255], v17 offset:54272                  // 0000000061C8: D9FED400 FC000011
	v_mfma_f32_16x16x32_f16 v[36:39], v[244:247], a[20:23], v[36:39]// 0000000061D0: D3D40024 149229F4
	v_mul_f32_e32 v114, s47, v114                              // 0000000061D8: 0AE4E42F
	v_mul_f32_e32 v115, s47, v115                              // 0000000061DC: 0AE6E62F
	v_mfma_f32_16x16x32_f16 v[40:43], v[224:227], a[24:27], 0  // 0000000061E0: D3D40028 120231E0
	ds_read_b128 v[72:75], v12 offset:22528                    // 0000000061E8: D9FE5800 4800000C
	ds_read_b128 v[76:79], v12 offset:23552                    // 0000000061F0: D9FE5C00 4C00000C
	v_mfma_f32_16x16x32_f16 v[40:43], v[228:231], a[28:31], v[40:43]// 0000000061F8: D3D40028 14A239E4
	v_mul_f32_e32 v116, s47, v116                              // 000000006200: 0AE8E82F
	v_mul_f32_e32 v117, s47, v117                              // 000000006204: 0AEAEA2F
	v_mfma_f32_16x16x32_f16 v[40:43], v[232:235], a[32:35], v[40:43]// 000000006208: D3D40028 14A241E8
	ds_read_b128 v[80:83], v12 offset:24576                    // 000000006210: D9FE6000 5000000C
	ds_read_b128 v[84:87], v12 offset:25600                    // 000000006218: D9FE6400 5400000C
	v_mfma_f32_16x16x32_f16 v[40:43], v[236:239], a[36:39], v[40:43]// 000000006220: D3D40028 14A249EC
	v_mul_f32_e32 v118, s47, v118                              // 000000006228: 0AECEC2F
	v_mul_f32_e32 v119, s47, v119                              // 00000000622C: 0AEEEE2F
	buffer_atomic_add_f32 v108, v7, s[32:35], 0 offen          // 000000006230: E1341000 80086C07
	s_waitcnt lgkmcnt(10)                                      // 000000006238: BF8CCA7F
	v_mfma_f32_16x16x32_f16 v[40:43], v[240:243], a[40:43], v[40:43]// 00000000623C: D3D40028 14A251F0
	ds_read_b64_tr_b16 v[88:89], v13 offset:22528              // 000000006244: D9C65800 5800000D
	ds_read_b64_tr_b16 v[90:91], v13 offset:22784              // 00000000624C: D9C65900 5A00000D
	v_mfma_f32_16x16x32_f16 v[40:43], v[244:247], a[44:47], v[40:43]// 000000006254: D3D40028 14A259F4
	v_fma_f32 v36, v36, s57, -v104                             // 00000000625C: D1CB0024 85A07324
	v_fma_f32 v37, v37, s57, -v105                             // 000000006264: D1CB0025 85A47325
	s_waitcnt lgkmcnt(10)                                      // 00000000626C: BF8CCA7F
	v_mfma_f32_16x16x32_f16 v[44:47], v[224:227], a[48:51], 0  // 000000006270: D3D4002C 120261E0
	ds_read_b64_tr_b16 v[92:93], v13 offset:23552              // 000000006278: D9C65C00 5C00000D
	ds_read_b64_tr_b16 v[94:95], v13 offset:23808              // 000000006280: D9C65D00 5E00000D
	v_mfma_f32_16x16x32_f16 v[44:47], v[228:231], a[52:55], v[44:47]// 000000006288: D3D4002C 14B269E4
	v_fma_f32 v38, v38, s57, -v106                             // 000000006290: D1CB0026 85A87326
	v_fma_f32 v39, v39, s57, -v107                             // 000000006298: D1CB0027 85AC7327
	s_waitcnt lgkmcnt(10)                                      // 0000000062A0: BF8CCA7F
	v_mfma_f32_16x16x32_f16 v[44:47], v[232:235], a[56:59], v[44:47]// 0000000062A4: D3D4002C 14B271E8
	ds_read_b64_tr_b16 v[96:97], v13 offset:24576              // 0000000062AC: D9C66000 6000000D
	ds_read_b64_tr_b16 v[98:99], v13 offset:24832              // 0000000062B4: D9C66100 6200000D
	v_mfma_f32_16x16x32_f16 v[44:47], v[236:239], a[60:63], v[44:47]// 0000000062BC: D3D4002C 14B279EC
	v_fma_f32 v40, v40, s57, -v104                             // 0000000062C4: D1CB0028 85A07328
	v_fma_f32 v41, v41, s57, -v105                             // 0000000062CC: D1CB0029 85A47329
	buffer_atomic_add_f32 v109, v8, s[32:35], 0 offen          // 0000000062D4: E1341000 80086D08
	s_waitcnt lgkmcnt(10)                                      // 0000000062DC: BF8CCA7F
	v_mfma_f32_16x16x32_f16 v[44:47], v[240:243], v[248:251], v[44:47]// 0000000062E0: D3D4002C 04B3F1F0
	ds_read_b64_tr_b16 v[100:101], v13 offset:25600            // 0000000062E8: D9C66400 6400000D
	ds_read_b64_tr_b16 v[102:103], v13 offset:25856            // 0000000062F0: D9C66500 6600000D
	v_mfma_f32_16x16x32_f16 v[44:47], v[244:247], v[252:255], v[44:47]// 0000000062F8: D3D4002C 04B3F9F4
	v_fma_f32 v42, v42, s57, -v106                             // 000000006300: D1CB002A 85A8732A
	v_fma_f32 v43, v43, s57, -v107                             // 000000006308: D1CB002B 85AC732B
	s_cmp_lt_i32 s98, 0xc0                                     // 000000006310: BF04FF62 000000C0
	s_cbranch_scc0 label_091E                                  // 000000006318: BF84004D
	s_cmp_le_i32 s98, 64                                       // 00000000631C: BF05C062
	s_cbranch_scc1 label_08D5                                  // 000000006320: BF850007
	s_cmp_le_i32 s98, 0x80                                     // 000000006324: BF05FF62 00000080
	s_cbranch_scc1 label_08ED                                  // 00000000632C: BF850017
	s_cmp_lt_i32 s98, 0xc0                                     // 000000006330: BF04FF62 000000C0
	s_cbranch_scc1 label_0905                                  // 000000006338: BF85002C
	s_branch label_091E                                        // 00000000633C: BF820044

0000000000006340 <label_08D5>:
	s_mov_b32 s60, 0                                           // 000000006340: BEBC0080
	v_and_b32_e32 v32, 15, v0                                  // 000000006344: 2640008F
	v_add_u32_e64 v32, v32, s60                                // 000000006348: D1340020 00007920
	v_mul_i32_i24_e64 v33, s46, 16                             // 000000006350: D1060021 0001202E
	v_add_u32_e32 v32, v32, v33                                // 000000006358: 68404320
	v_cmp_lt_u32_e64 s[60:61], v32, s98                        // 00000000635C: D0C9003C 0000C520
	s_nop 1                                                    // 000000006364: BF800001
	v_cndmask_b32_e64 v36, v127, v36, s[60:61]                 // 000000006368: D1000024 00F2497F
	v_cndmask_b32_e64 v37, v127, v37, s[60:61]                 // 000000006370: D1000025 00F24B7F
	v_cndmask_b32_e64 v38, v127, v38, s[60:61]                 // 000000006378: D1000026 00F24D7F
	v_cndmask_b32_e64 v39, v127, v39, s[60:61]                 // 000000006380: D1000027 00F24F7F
	s_branch label_0900                                        // 000000006388: BF820013

000000000000638c <label_08ED>:
	s_mov_b32 s60, 64                                          // 00000000638C: BEBC00C0
	v_and_b32_e32 v32, 15, v0                                  // 000000006390: 2640008F
	v_add_u32_e64 v32, v32, s60                                // 000000006394: D1340020 00007920
	v_mul_i32_i24_e64 v33, s46, 16                             // 00000000639C: D1060021 0001202E
	v_add_u32_e32 v32, v32, v33                                // 0000000063A4: 68404320
	v_cmp_lt_u32_e64 s[60:61], v32, s98                        // 0000000063A8: D0C9003C 0000C520
	s_nop 1                                                    // 0000000063B0: BF800001
	v_cndmask_b32_e64 v40, v127, v40, s[60:61]                 // 0000000063B4: D1000028 00F2517F
	v_cndmask_b32_e64 v41, v127, v41, s[60:61]                 // 0000000063BC: D1000029 00F2537F
	v_cndmask_b32_e64 v42, v127, v42, s[60:61]                 // 0000000063C4: D100002A 00F2557F
	v_cndmask_b32_e64 v43, v127, v43, s[60:61]                 // 0000000063CC: D100002B 00F2577F
	s_branch label_0919                                        // 0000000063D4: BF820019

00000000000063d8 <label_0900>:
	v_mov_b32_e32 v40, v127                                    // 0000000063D8: 7E50037F
	v_mov_b32_e32 v41, v127                                    // 0000000063DC: 7E52037F
	v_mov_b32_e32 v42, v127                                    // 0000000063E0: 7E54037F
	v_mov_b32_e32 v43, v127                                    // 0000000063E4: 7E56037F
	s_branch label_0919                                        // 0000000063E8: BF820014

00000000000063ec <label_0905>:
	s_mov_b32 s60, 0x80                                        // 0000000063EC: BEBC00FF 00000080
	v_and_b32_e32 v32, 15, v0                                  // 0000000063F4: 2640008F
	v_add_u32_e64 v32, v32, s60                                // 0000000063F8: D1340020 00007920
	v_mul_i32_i24_e64 v33, s46, 16                             // 000000006400: D1060021 0001202E
	v_add_u32_e32 v32, v32, v33                                // 000000006408: 68404320
	v_cmp_lt_u32_e64 s[60:61], v32, s98                        // 00000000640C: D0C9003C 0000C520
	s_nop 1                                                    // 000000006414: BF800001
	v_cndmask_b32_e64 v44, v127, v44, s[60:61]                 // 000000006418: D100002C 00F2597F
	v_cndmask_b32_e64 v45, v127, v45, s[60:61]                 // 000000006420: D100002D 00F25B7F
	v_cndmask_b32_e64 v46, v127, v46, s[60:61]                 // 000000006428: D100002E 00F25D7F
	v_cndmask_b32_e64 v47, v127, v47, s[60:61]                 // 000000006430: D100002F 00F25F7F
	s_branch label_091E                                        // 000000006438: BF820005

000000000000643c <label_0919>:
	v_mov_b32_e32 v44, v127                                    // 00000000643C: 7E58037F
	v_mov_b32_e32 v45, v127                                    // 000000006440: 7E5A037F
	v_mov_b32_e32 v46, v127                                    // 000000006444: 7E5C037F
	v_mov_b32_e32 v47, v127                                    // 000000006448: 7E5E037F
	s_branch label_091E                                        // 00000000644C: BF820000

0000000000006450 <label_091E>:
	s_waitcnt lgkmcnt(8)                                       // 000000006450: BF8CC87F
	v_mfma_f32_16x16x32_f16 v[60:63], v[72:75], a[64:67], 0    // 000000006454: D3D4003C 12028148
	v_exp_f32_e32 v36, v36                                     // 00000000645C: 7E484124
	v_exp_f32_e32 v37, v37                                     // 000000006460: 7E4A4125
	v_mfma_f32_16x16x32_f16 v[60:63], v[76:79], a[68:71], v[60:63]// 000000006464: D3D4003C 14F2894C
	v_exp_f32_e32 v38, v38                                     // 00000000646C: 7E4C4126
	v_exp_f32_e32 v39, v39                                     // 000000006470: 7E4E4127
	v_mfma_f32_16x16x32_f16 v[60:63], v[80:83], a[72:75], v[60:63]// 000000006474: D3D4003C 14F29150
	ds_read_b64_tr_b16 v[224:225], v13 offset:6144             // 00000000647C: D9C61800 E000000D
	ds_read_b64_tr_b16 v[226:227], v13 offset:6400             // 000000006484: D9C61900 E200000D
	ds_read_b64_tr_b16 v[228:229], v13 offset:7168             // 00000000648C: D9C61C00 E400000D
	ds_read_b64_tr_b16 v[230:231], v13 offset:7424             // 000000006494: D9C61D00 E600000D
	v_mfma_f32_16x16x32_f16 v[60:63], v[84:87], a[76:79], v[60:63]// 00000000649C: D3D4003C 14F29954
	v_fma_f32 v44, v44, s57, -v104                             // 0000000064A4: D1CB002C 85A0732C
	v_fma_f32 v45, v45, s57, -v105                             // 0000000064AC: D1CB002D 85A4732D
	v_exp_f32_e32 v40, v40                                     // 0000000064B4: 7E504128
	v_exp_f32_e32 v41, v41                                     // 0000000064B8: 7E524129
	buffer_atomic_add_f32 v110, v9, s[32:35], 0 offen          // 0000000064BC: E1341000 80086E09
	v_mfma_f32_16x16x32_f16 v[64:67], v[72:75], a[80:83], 0    // 0000000064C4: D3D40040 1202A148
	ds_read_b64_tr_b16 v[232:233], v13 offset:8192             // 0000000064CC: D9C62000 E800000D
	ds_read_b64_tr_b16 v[234:235], v13 offset:8448             // 0000000064D4: D9C62100 EA00000D
	ds_read_b64_tr_b16 v[236:237], v13 offset:9216             // 0000000064DC: D9C62400 EC00000D
	ds_read_b64_tr_b16 v[238:239], v13 offset:9472             // 0000000064E4: D9C62500 EE00000D
	v_mfma_f32_16x16x32_f16 v[64:67], v[76:79], a[84:87], v[64:67]// 0000000064EC: D3D40040 1502A94C
	v_fma_f32 v46, v46, s57, -v106                             // 0000000064F4: D1CB002E 85A8732E
	v_fma_f32 v47, v47, s57, -v107                             // 0000000064FC: D1CB002F 85AC732F
	v_exp_f32_e32 v42, v42                                     // 000000006504: 7E54412A
	v_exp_f32_e32 v43, v43                                     // 000000006508: 7E56412B
	v_mfma_f32_16x16x32_f16 v[64:67], v[80:83], a[88:91], v[64:67]// 00000000650C: D3D40040 1502B150
	v_exp_f32_e32 v44, v44                                     // 000000006514: 7E58412C
	v_exp_f32_e32 v45, v45                                     // 000000006518: 7E5A412D
	v_mfma_f32_16x16x32_f16 v[64:67], v[84:87], a[92:95], v[64:67]// 00000000651C: D3D40040 1502B954
	v_cvt_pk_f16_f32 v120, v36, v37                            // 000000006524: D2670078 00024B24
	v_cvt_pk_f16_f32 v121, v38, v39                            // 00000000652C: D2670079 00024F26
	v_cvt_pk_f16_f32 v122, v40, v41                            // 000000006534: D267007A 00025328
	v_cvt_pk_f16_f32 v123, v42, v43                            // 00000000653C: D267007B 0002572A
	v_mfma_f32_16x16x32_f16 v[68:71], v[72:75], a[96:99], 0    // 000000006544: D3D40044 1202C148
	v_exp_f32_e32 v46, v46                                     // 00000000654C: 7E5C412E
	v_exp_f32_e32 v47, v47                                     // 000000006550: 7E5E412F
	v_mfma_f32_16x16x32_f16 v[68:71], v[76:79], a[100:103], v[68:71]// 000000006554: D3D40044 1512C94C
	v_permlane16_swap_b32_e32 v120, v122                       // 00000000655C: 7EF0B37A
	v_permlane16_swap_b32_e32 v121, v123                       // 000000006560: 7EF2B37B
	v_mfma_f32_16x16x32_f16 v[68:71], v[80:83], a[104:107], v[68:71]// 000000006564: D3D40044 1512D150
	ds_read_b64_tr_b16 v[240:241], v13 offset:10240            // 00000000656C: D9C62800 F000000D
	ds_read_b64_tr_b16 v[242:243], v13 offset:10496            // 000000006574: D9C62900 F200000D
	ds_read_b64_tr_b16 v[244:245], v13 offset:11264            // 00000000657C: D9C62C00 F400000D
	ds_read_b64_tr_b16 v[246:247], v13 offset:11520            // 000000006584: D9C62D00 F600000D
	v_mfma_f32_16x16x32_f16 v[68:71], v[84:87], a[108:111], v[68:71]// 00000000658C: D3D40044 1512D954
	v_cvt_pk_f16_f32 v124, v44, v45                            // 000000006594: D267007C 00025B2C
	v_cvt_pk_f16_f32 v125, v46, v47                            // 00000000659C: D267007D 00025F2E
	buffer_atomic_add_f32 v111, v10, s[32:35], 0 offen         // 0000000065A4: E1341000 80086F0A
	s_waitcnt lgkmcnt(12)                                      // 0000000065AC: BF8CCC7F
	v_mfma_f32_32x32x16_f16 v[128:143], v[88:91], v[120:123], v[128:143]// 0000000065B0: D3D50080 0602F158
	ds_read_b64_tr_b16 a[0:1], v19                             // 0000000065B8: DBC60000 00000013
	ds_read_b64_tr_b16 a[2:3], v19 offset:256                  // 0000000065C0: DBC60100 02000013
	ds_read_b64_tr_b16 a[4:5], v19 offset:12288                // 0000000065C8: DBC63000 04000013
	ds_read_b64_tr_b16 a[6:7], v19 offset:12544                // 0000000065D0: DBC63100 06000013
	ds_read_b64_tr_b16 a[8:9], v19 offset:24576                // 0000000065D8: DBC66000 08000013
	buffer_atomic_add_f32 v112, v7, s[32:35], 0 offen offset:64// 0000000065E0: E1341040 80087007
	v_mfma_f32_32x32x16_f16 v[144:159], v[92:95], v[120:123], v[144:159]// 0000000065E8: D3D50090 0642F15C
	v_subrev_f32_dpp v60, v126, v60 quad_perm:[0,0,0,0] row_mask:0xf bank_mask:0xf// 0000000065F0: 067878FA FF00007E
	v_subrev_f32_dpp v61, v126, v61 quad_perm:[1,1,1,1] row_mask:0xf bank_mask:0xf// 0000000065F8: 067A7AFA FF00557E
	v_subrev_f32_dpp v62, v126, v62 quad_perm:[2,2,2,2] row_mask:0xf bank_mask:0xf// 000000006600: 067C7CFA FF00AA7E
	v_subrev_f32_dpp v63, v126, v63 quad_perm:[3,3,3,3] row_mask:0xf bank_mask:0xf// 000000006608: 067E7EFA FF00FF7E
	v_subrev_f32_dpp v64, v126, v64 quad_perm:[0,0,0,0] row_mask:0xf bank_mask:0xf// 000000006610: 068080FA FF00007E
	v_subrev_f32_dpp v65, v126, v65 quad_perm:[1,1,1,1] row_mask:0xf bank_mask:0xf// 000000006618: 068282FA FF00557E
	v_subrev_f32_dpp v66, v126, v66 quad_perm:[2,2,2,2] row_mask:0xf bank_mask:0xf// 000000006620: 068484FA FF00AA7E
	v_subrev_f32_dpp v67, v126, v67 quad_perm:[3,3,3,3] row_mask:0xf bank_mask:0xf// 000000006628: 068686FA FF00FF7E
	v_mul_f32_e32 v60, v36, v60                                // 000000006630: 0A787924
	v_mul_f32_e32 v61, v37, v61                                // 000000006634: 0A7A7B25
	v_mul_f32_e32 v62, v38, v62                                // 000000006638: 0A7C7D26
	v_mul_f32_e32 v63, v39, v63                                // 00000000663C: 0A7E7F27
	v_mfma_f32_32x32x16_f16 v[160:175], v[96:99], v[120:123], v[160:175]// 000000006640: D3D500A0 0682F160
	ds_read_b64_tr_b16 a[10:11], v19 offset:24832              // 000000006648: DBC66100 0A000013
	ds_read_b64_tr_b16 a[12:13], v19 offset:36864              // 000000006650: DBC69000 0C000013
	ds_read_b64_tr_b16 a[14:15], v19 offset:37120              // 000000006658: DBC69100 0E000013
	ds_read_b64_tr_b16 a[16:17], v19 offset:49152              // 000000006660: DBC6C000 10000013
	ds_read_b64_tr_b16 a[18:19], v19 offset:49408              // 000000006668: DBC6C100 12000013
	ds_read_b32 v104, v16 offset:38656                         // 000000006670: D86C9700 68000010
	v_mfma_f32_32x32x16_f16 v[176:191], v[100:103], v[120:123], v[176:191]// 000000006678: D3D500B0 06C2F164
	v_mul_f32_e32 v64, v40, v64                                // 000000006680: 0A808128
	v_mul_f32_e32 v65, v41, v65                                // 000000006684: 0A828329
	v_mul_f32_e32 v66, v42, v66                                // 000000006688: 0A84852A
	v_mul_f32_e32 v67, v43, v67                                // 00000000668C: 0A86872B
	v_permlane16_swap_b32_e32 v88, v90                         // 000000006690: 7EB0B35A
	v_permlane16_swap_b32_e32 v89, v91                         // 000000006694: 7EB2B35B
	v_cvt_pk_f16_f32 v60, v60, v61                             // 000000006698: D267003C 00027B3C
	v_cvt_pk_f16_f32 v61, v62, v63                             // 0000000066A0: D267003D 00027F3E
	v_cvt_pk_f16_f32 v62, v64, v65                             // 0000000066A8: D267003E 00028340
	v_cvt_pk_f16_f32 v63, v66, v67                             // 0000000066B0: D267003F 00028742
	v_permlane16_swap_b32_e32 v92, v94                         // 0000000066B8: 7EB8B35E
	v_permlane16_swap_b32_e32 v93, v95                         // 0000000066BC: 7EBAB35F
	v_mfma_f32_16x16x16_f16 v[192:195], v[88:89], v[124:125], v[192:195]// 0000000066C0: D3CD00C0 0702F958
	buffer_atomic_add_f32 v113, v8, s[32:35], 0 offen offset:64// 0000000066C8: E1341040 80087108
	ds_write_b64 v15, v[60:61] offset:30720                    // 0000000066D0: D89A7800 00003C0F
	ds_write_b64 v15, v[62:63] offset:33024                    // 0000000066D8: D89A8100 00003E0F
	v_mfma_f32_16x16x16_f16 v[196:199], v[90:91], v[124:125], v[196:199]// 0000000066E0: D3CD00C4 0712F95A
	v_permlane16_swap_b32_e32 v96, v98                         // 0000000066E8: 7EC0B362
	v_permlane16_swap_b32_e32 v97, v99                         // 0000000066EC: 7EC2B363
	v_subrev_f32_dpp v68, v126, v68 quad_perm:[0,0,0,0] row_mask:0xf bank_mask:0xf// 0000000066F0: 068888FA FF00007E
	v_subrev_f32_dpp v69, v126, v69 quad_perm:[1,1,1,1] row_mask:0xf bank_mask:0xf// 0000000066F8: 068A8AFA FF00557E
	v_mfma_f32_16x16x16_f16 v[200:203], v[92:93], v[124:125], v[200:203]// 000000006700: D3CD00C8 0722F95C
	v_permlane16_swap_b32_e32 v100, v102                       // 000000006708: 7EC8B366
	v_permlane16_swap_b32_e32 v101, v103                       // 00000000670C: 7ECAB367
	v_subrev_f32_dpp v70, v126, v70 quad_perm:[2,2,2,2] row_mask:0xf bank_mask:0xf// 000000006710: 068C8CFA FF00AA7E
	v_subrev_f32_dpp v71, v126, v71 quad_perm:[3,3,3,3] row_mask:0xf bank_mask:0xf// 000000006718: 068E8EFA FF00FF7E
	v_mfma_f32_16x16x16_f16 v[204:207], v[94:95], v[124:125], v[204:207]// 000000006720: D3CD00CC 0732F95E
	v_permlane16_swap_b32_e32 v60, v62                         // 000000006728: 7E78B33E
	v_permlane16_swap_b32_e32 v61, v63                         // 00000000672C: 7E7AB33F
	v_mfma_f32_16x16x16_f16 v[208:211], v[96:97], v[124:125], v[208:211]// 000000006730: D3CD00D0 0742F960
	ds_read_b64_tr_b16 a[20:21], v19 offset:61440              // 000000006738: DBC6F000 14000013
	ds_read_b64_tr_b16 a[22:23], v19 offset:61696              // 000000006740: DBC6F100 16000013
	ds_read_b64_tr_b16 a[24:25], v20                           // 000000006748: DBC60000 18000014
	v_mfma_f32_16x16x16_f16 v[212:215], v[98:99], v[124:125], v[212:215]// 000000006750: D3CD00D4 0752F962
	v_mul_f32_e32 v68, v44, v68                                // 000000006758: 0A88892C
	v_mul_f32_e32 v69, v45, v69                                // 00000000675C: 0A8A8B2D
	v_mul_f32_e32 v70, v46, v70                                // 000000006760: 0A8C8D2E
	v_mfma_f32_16x16x16_f16 v[216:219], v[100:101], v[124:125], v[216:219]// 000000006764: D3CD00D8 0762F964
	ds_read_b32 v126, v16 offset:38912                         // 00000000676C: D86C9800 7E000010
	ds_read_b64_tr_b16 a[26:27], v20 offset:256                // 000000006774: DBC60100 1A000014
	ds_read_b64_tr_b16 a[28:29], v20 offset:12288              // 00000000677C: DBC63000 1C000014
	v_mfma_f32_16x16x16_f16 v[220:223], v[102:103], v[124:125], v[220:223]// 000000006784: D3CD00DC 0772F966
	v_mul_f32_e32 v71, v47, v71                                // 00000000678C: 0A8E8F2F
	v_cvt_pk_f16_f32 v64, v68, v69                             // 000000006790: D2670040 00028B44
	v_cvt_pk_f16_f32 v65, v70, v71                             // 000000006798: D2670041 00028F46
	s_waitcnt lgkmcnt(8)                                       // 0000000067A0: BF8CC87F
	v_mfma_f32_32x32x16_f16 a[112:127], v[224:227], v[60:63], a[112:127]// 0000000067A4: D3D58070 05C279E0
	ds_read_b64_tr_b16 a[30:31], v20 offset:12544              // 0000000067AC: DBC63100 1E000014
	ds_write_b64 v15, v[64:65] offset:35328                    // 0000000067B4: D89A8A00 0000400F
	ds_read_b64_tr_b16 a[32:33], v20 offset:24576              // 0000000067BC: DBC66000 20000014
	ds_read_b64_tr_b16 a[34:35], v20 offset:24832              // 0000000067C4: DBC66100 22000014
	v_mfma_f32_32x32x16_f16 a[128:143], v[228:231], v[60:63], a[128:143]// 0000000067CC: D3D58080 060279E4
	v_mul_f32_e32 v104, s48, v104                              // 0000000067D4: 0AD0D030
	buffer_atomic_add_f32 v114, v9, s[32:35], 0 offen offset:64// 0000000067D8: E1341040 80087209
	v_mfma_f32_32x32x16_f16 a[144:159], v[232:235], v[60:63], a[144:159]// 0000000067E0: D3D58090 064279E8
	ds_read_b64_tr_b16 a[36:37], v20 offset:36864              // 0000000067E8: DBC69000 24000014
	ds_read_b64_tr_b16 a[38:39], v20 offset:37120              // 0000000067F0: DBC69100 26000014
	ds_read_b64_tr_b16 a[40:41], v20 offset:49152              // 0000000067F8: DBC6C000 28000014
	ds_read_b64_tr_b16 a[42:43], v20 offset:49408              // 000000006800: DBC6C100 2A000014
	ds_read_b64_tr_b16 a[44:45], v20 offset:61440              // 000000006808: DBC6F000 2C000014
	ds_read_b64_tr_b16 a[46:47], v20 offset:61696              // 000000006810: DBC6F100 2E000014
	v_mfma_f32_32x32x16_f16 a[160:175], v[236:239], v[60:63], a[160:175]// 000000006818: D3D580A0 068279EC
	.long 0x7fc0b3e2                                           // 000000006820: 7FC0B3E2
	.long 0x7fc2b3e3                                           // 000000006824: 7FC2B3E3
	buffer_atomic_add_f32 v115, v10, s[32:35], 0 offen offset:64// 000000006828: E1341040 8008730A
	s_waitcnt lgkmcnt(8)                                       // 000000006830: BF8CC87F
	s_barrier                                                  // 000000006834: BF8A0000
	v_mfma_f32_32x32x16_f16 a[176:191], v[240:243], v[60:63], a[176:191]// 000000006838: D3D580B0 06C279F0
	ds_read_b64_tr_b16 v[36:37], v14 offset:30720              // 000000006840: D9C67800 2400000E
	ds_read_b64_tr_b16 v[38:39], v14 offset:30752              // 000000006848: D9C67820 2600000E
	ds_read_b64_tr_b16 v[40:41], v14 offset:31872              // 000000006850: D9C67C80 2800000E
	ds_read_b64_tr_b16 v[42:43], v14 offset:31904              // 000000006858: D9C67CA0 2A00000E
	ds_read_b64_tr_b16 v[44:45], v14 offset:33024              // 000000006860: D9C68100 2C00000E
	ds_read_b64_tr_b16 v[46:47], v14 offset:33056              // 000000006868: D9C68120 2E00000E
	v_mfma_f32_32x32x16_f16 a[192:207], v[244:247], v[60:63], a[192:207]// 000000006870: D3D580C0 070279F4
	.long 0x7fc8b3e6                                           // 000000006878: 7FC8B3E6
	.long 0x7fcab3e7                                           // 00000000687C: 7FCAB3E7
	v_mov_b32_dpp v107, v104 quad_perm:[3,3,3,3] row_mask:0xf bank_mask:0xf// 000000006880: 7ED602FA FF00FF68
	v_mov_b32_dpp v106, v104 quad_perm:[2,2,2,2] row_mask:0xf bank_mask:0xf// 000000006888: 7ED402FA FF00AA68
	buffer_atomic_add_f32 v116, v7, s[32:35], 0 offen offset:128// 000000006890: E1341080 80087407
	v_mfma_f32_16x16x16_f16 a[208:211], v[224:225], v[64:65], a[208:211]// 000000006898: D3CD80D0 074281E0
	ds_read_b64_tr_b16 v[48:49], v14 offset:34176              // 0000000068A0: D9C68580 3000000E
	ds_read_b64_tr_b16 v[50:51], v14 offset:34208              // 0000000068A8: D9C685A0 3200000E
	ds_read_b64_tr_b16 v[52:53], v14 offset:35328              // 0000000068B0: D9C68A00 3400000E
	v_mfma_f32_16x16x16_f16 a[212:215], v[226:227], v[64:65], a[212:215]// 0000000068B8: D3CD80D4 075281E2
	.long 0x7fd0b3ea                                           // 0000000068C0: 7FD0B3EA
	.long 0x7fd2b3eb                                           // 0000000068C4: 7FD2B3EB
	v_mfma_f32_16x16x16_f16 a[216:219], v[228:229], v[64:65], a[216:219]// 0000000068C8: D3CD80D8 076281E4
	ds_read_b64_tr_b16 v[54:55], v14 offset:35360              // 0000000068D0: D9C68A20 3600000E
	ds_read_b64_tr_b16 v[56:57], v14 offset:36480              // 0000000068D8: D9C68E80 3800000E
	ds_read_b64_tr_b16 v[58:59], v14 offset:36512              // 0000000068E0: D9C68EA0 3A00000E
	v_mfma_f32_16x16x16_f16 a[220:223], v[230:231], v[64:65], a[220:223]// 0000000068E8: D3CD80DC 077281E6
	v_permlane16_swap_b32_e32 v236, v238                       // 0000000068F0: 7FD8B3EE
	v_permlane16_swap_b32_e32 v237, v239                       // 0000000068F4: 7FDAB3EF
	buffer_atomic_add_f32 v117, v8, s[32:35], 0 offen offset:128// 0000000068F8: E1341080 80087508
	v_mfma_f32_16x16x16_f16 a[224:227], v[232:233], v[64:65], a[224:227]// 000000006900: D3CD80E0 078281E8
	ds_read_b64_tr_b16 a[48:49], v21                           // 000000006908: DBC60000 30000015
	ds_read_b64_tr_b16 a[50:51], v21 offset:256                // 000000006910: DBC60100 32000015
	ds_read_b64_tr_b16 a[52:53], v21 offset:12288              // 000000006918: DBC63000 34000015
	v_mfma_f32_16x16x16_f16 a[228:231], v[234:235], v[64:65], a[228:231]// 000000006920: D3CD80E4 079281EA
	v_permlane16_swap_b32_e32 v240, v242                       // 000000006928: 7FE0B3F2
	v_permlane16_swap_b32_e32 v241, v243                       // 00000000692C: 7FE2B3F3
	v_mfma_f32_16x16x16_f16 a[232:235], v[236:237], v[64:65], a[232:235]// 000000006930: D3CD80E8 07A281EC
	ds_read_b64_tr_b16 a[54:55], v21 offset:12544              // 000000006938: DBC63100 36000015
	ds_read_b64_tr_b16 a[56:57], v21 offset:24576              // 000000006940: DBC66000 38000015
	ds_read_b64_tr_b16 a[58:59], v21 offset:24832              // 000000006948: DBC66100 3A000015
	v_mfma_f32_16x16x16_f16 a[236:239], v[238:239], v[64:65], a[236:239]// 000000006950: D3CD80EC 07B281EE
	v_permlane16_swap_b32_e32 v244, v246                       // 000000006958: 7FE8B3F6
	v_permlane16_swap_b32_e32 v245, v247                       // 00000000695C: 7FEAB3F7
	v_mfma_f32_16x16x16_f16 a[240:243], v[240:241], v[64:65], a[240:243]// 000000006960: D3CD80F0 07C281F0
	ds_read_b64_tr_b16 a[60:61], v21 offset:36864              // 000000006968: DBC69000 3C000015
	ds_read_b64_tr_b16 a[62:63], v21 offset:37120              // 000000006970: DBC69100 3E000015
	ds_read_b64_tr_b16 v[248:249], v21 offset:49152            // 000000006978: D9C6C000 F8000015
	v_mfma_f32_16x16x16_f16 a[244:247], v[242:243], v[64:65], a[244:247]// 000000006980: D3CD80F4 07D281F2
	v_mov_b32_dpp v105, v104 quad_perm:[1,1,1,1] row_mask:0xf bank_mask:0xf// 000000006988: 7ED202FA FF005568
	buffer_atomic_add_f32 v118, v9, s[32:35], 0 offen offset:128// 000000006990: E1341080 80087609
	v_mfma_f32_16x16x16_f16 a[248:251], v[244:245], v[64:65], a[248:251]// 000000006998: D3CD80F8 07E281F4
	ds_read_b64_tr_b16 v[250:251], v21 offset:49408            // 0000000069A0: D9C6C100 FA000015
	ds_read_b64_tr_b16 v[252:253], v21 offset:61440            // 0000000069A8: D9C6F000 FC000015
	ds_read_b64_tr_b16 v[254:255], v21 offset:61696            // 0000000069B0: D9C6F100 FE000015
	v_mfma_f32_16x16x16_f16 a[252:255], v[246:247], v[64:65], a[252:255]// 0000000069B8: D3CD80FC 07F281F6
	v_mov_b32_dpp v104, v104 quad_perm:[0,0,0,0] row_mask:0xf bank_mask:0xf// 0000000069C0: 7ED002FA FF000068
	buffer_atomic_add_f32 v119, v10, s[32:35], 0 offen offset:128// 0000000069C8: E1341080 8008770A
	s_waitcnt vmcnt(12) lgkmcnt(6)                             // 0000000069D0: BF8C067C
	s_barrier                                                  // 0000000069D4: BF8A0000
	v_mfma_f32_16x16x32_f16 v[108:111], v[36:39], a[0:3], 0    // 0000000069D8: D3D4006C 12020124
	ds_read_b128 v[224:227], v12 offset:12288                  // 0000000069E0: D9FE3000 E000000C
	ds_read_b128 v[228:231], v12 offset:13312                  // 0000000069E8: D9FE3400 E400000C
	v_mfma_f32_16x16x32_f16 v[108:111], v[40:43], a[4:7], v[108:111]// 0000000069F0: D3D4006C 15B20928
	s_mov_b32 m0, s80                                          // 0000000069F8: BEFC0050
	buffer_load_dwordx4 v1, s[8:11], 0 idxen lds               // 0000000069FC: E05D2000 80020001
	v_mfma_f32_16x16x32_f16 v[108:111], v[44:47], a[8:11], v[108:111]// 000000006A04: D3D4006C 15B2112C
	ds_read_b128 v[232:235], v12 offset:14336                  // 000000006A0C: D9FE3800 E800000C
	ds_read_b128 v[236:239], v12 offset:15360                  // 000000006A14: D9FE3C00 EC00000C
	v_mfma_f32_16x16x32_f16 v[108:111], v[48:51], a[12:15], v[108:111]// 000000006A1C: D3D4006C 15B21930
	s_mov_b32 m0, s81                                          // 000000006A24: BEFC0051
	buffer_load_dword v2, s[8:11], 0 idxen lds                 // 000000006A28: E0512000 80020002
	v_mfma_f32_16x16x32_f16 v[108:111], v[52:55], a[16:19], v[108:111]// 000000006A30: D3D4006C 15B22134
	ds_read_b128 v[240:243], v12 offset:16384                  // 000000006A38: D9FE4000 F000000C
	ds_read_b128 v[244:247], v12 offset:17408                  // 000000006A40: D9FE4400 F400000C
	v_mfma_f32_16x16x32_f16 v[108:111], v[56:59], a[20:23], v[108:111]// 000000006A48: D3D4006C 15B22938
	s_mov_b32 m0, s82                                          // 000000006A50: BEFC0052
	buffer_load_dword v3, s[8:11], 0 idxen lds                 // 000000006A54: E0512000 80020003
	v_mfma_f32_16x16x32_f16 v[112:115], v[36:39], a[24:27], 0  // 000000006A5C: D3D40070 12023124
	ds_read_b128 a[0:3], v17                                   // 000000006A64: DBFE0000 00000011
	ds_read_b128 a[4:7], v17 offset:1024                       // 000000006A6C: DBFE0400 04000011
	v_mfma_f32_16x16x32_f16 v[112:115], v[40:43], a[28:31], v[112:115]// 000000006A74: D3D40070 15C23928
	s_mov_b32 m0, s87                                          // 000000006A7C: BEFC0057
	buffer_load_dwordx4 v4, s[20:23], 0 idxen lds              // 000000006A80: E05D2000 80050004
	v_mfma_f32_16x16x32_f16 v[112:115], v[44:47], a[32:35], v[112:115]// 000000006A88: D3D40070 15C2412C
	ds_read_b128 a[8:11], v17 offset:2048                      // 000000006A90: DBFE0800 08000011
	ds_read_b128 a[12:15], v17 offset:3072                     // 000000006A98: DBFE0C00 0C000011
	v_mfma_f32_16x16x32_f16 v[112:115], v[48:51], a[36:39], v[112:115]// 000000006AA0: D3D40070 15C24930
	v_mul_f32_e32 v108, s47, v108                              // 000000006AA8: 0AD8D82F
	v_mul_f32_e32 v109, s47, v109                              // 000000006AAC: 0ADADA2F
	s_mov_b32 m0, s75                                          // 000000006AB0: BEFC004B
	buffer_load_dword v11, s[24:27], 0 idxen lds               // 000000006AB4: E0512000 8006000B
	v_mfma_f32_16x16x32_f16 v[112:115], v[52:55], a[40:43], v[112:115]// 000000006ABC: D3D40070 15C25134
	ds_read_b128 a[16:19], v17 offset:4096                     // 000000006AC4: DBFE1000 10000011
	ds_read_b128 a[20:23], v17 offset:5120                     // 000000006ACC: DBFE1400 14000011
	v_mfma_f32_16x16x32_f16 v[112:115], v[56:59], a[44:47], v[112:115]// 000000006AD4: D3D40070 15C25938
	s_add_u32 s60, 64, s59                                     // 000000006ADC: 803C3BC0
	s_cmp_lt_u32 s60, s58                                      // 000000006AE0: BF0A3A3C
	s_cselect_b32 s68, s68, 0                                  // 000000006AE4: 85448044
	s_cselect_b32 s97, s97, 0                                  // 000000006AE8: 85618061
	s_cselect_b32 s69, s69, 0                                  // 000000006AEC: 85458045
	v_mfma_f32_16x16x32_f16 v[116:119], v[36:39], a[48:51], 0  // 000000006AF0: D3D40074 12026124
	ds_read_b128 a[24:27], v17 offset:24576                    // 000000006AF8: DBFE6000 18000011
	ds_read_b128 a[28:31], v17 offset:25600                    // 000000006B00: DBFE6400 1C000011
	v_mfma_f32_16x16x32_f16 v[116:119], v[40:43], a[52:55], v[116:119]// 000000006B08: D3D40074 15D26928
	v_add_u32_e32 v1, s68, v1                                  // 000000006B10: 68020244
	v_add_u32_e32 v2, s68, v2                                  // 000000006B14: 68040444
	v_add_u32_e32 v3, s68, v3                                  // 000000006B18: 68060644
	v_add_u32_e32 v4, s97, v4                                  // 000000006B1C: 68080861
	v_add_u32_e32 v11, s69, v11                                // 000000006B20: 68161645
	s_waitcnt lgkmcnt(14)                                      // 000000006B24: BF8CCE7F
	v_mfma_f32_16x16x32_f16 v[116:119], v[44:47], a[56:59], v[116:119]// 000000006B28: D3D40074 15D2712C
	ds_read_b128 a[32:35], v17 offset:26624                    // 000000006B30: DBFE6800 20000011
	ds_read_b128 a[36:39], v17 offset:27648                    // 000000006B38: DBFE6C00 24000011
	v_mfma_f32_16x16x32_f16 v[116:119], v[48:51], a[60:63], v[116:119]// 000000006B40: D3D40074 15D27930
	v_mul_f32_e32 v110, s47, v110                              // 000000006B48: 0ADCDC2F
	v_mul_f32_e32 v111, s47, v111                              // 000000006B4C: 0ADEDE2F
	s_cmp_ge_u32 s59, 16                                       // 000000006B50: BF09903B
	s_cselect_b32 s66, s67, s66                                // 000000006B54: 85424243
	v_mfma_f32_16x16x32_f16 v[116:119], v[52:55], v[248:251], v[116:119]// 000000006B58: D3D40074 05D3F134
	ds_read_b128 a[40:43], v17 offset:28672                    // 000000006B60: DBFE7000 28000011
	ds_read_b128 a[44:47], v17 offset:29696                    // 000000006B68: DBFE7400 2C000011
	v_mfma_f32_16x16x32_f16 v[116:119], v[56:59], v[252:255], v[116:119]// 000000006B70: D3D40074 05D3F938
	s_addk_i32 s59, 0x10                                       // 000000006B78: B73B0010
	v_mul_f32_e32 v112, s47, v112                              // 000000006B7C: 0AE0E02F
	v_mul_f32_e32 v113, s47, v113                              // 000000006B80: 0AE2E22F
	s_cmp_lt_i32 s59, s58                                      // 000000006B84: BF043A3B
	s_cbranch_scc0 label_0D7D                                  // 000000006B88: BF84028B
	s_waitcnt lgkmcnt(2)                                       // 000000006B8C: BF8CC27F
	v_mfma_f32_16x16x32_f16 v[36:39], v[224:227], a[0:3], 0    // 000000006B90: D3D40024 120201E0
	ds_read_b128 a[48:51], v17 offset:49152                    // 000000006B98: DBFEC000 30000011
	ds_read_b128 a[52:55], v17 offset:50176                    // 000000006BA0: DBFEC400 34000011
	v_mfma_f32_16x16x32_f16 v[36:39], v[228:231], a[4:7], v[36:39]// 000000006BA8: D3D40024 149209E4
	v_add_u32_e32 v7, s66, v7                                  // 000000006BB0: 680E0E42
	v_add_u32_e32 v8, s66, v8                                  // 000000006BB4: 68101042
	v_mfma_f32_16x16x32_f16 v[36:39], v[232:235], a[8:11], v[36:39]// 000000006BB8: D3D40024 149211E8
	ds_read_b128 a[56:59], v17 offset:51200                    // 000000006BC0: DBFEC800 38000011
	ds_read_b128 a[60:63], v17 offset:52224                    // 000000006BC8: DBFECC00 3C000011
	v_mfma_f32_16x16x32_f16 v[36:39], v[236:239], a[12:15], v[36:39]// 000000006BD0: D3D40024 149219EC
	v_add_u32_e32 v9, s66, v9                                  // 000000006BD8: 68121242
	v_add_u32_e32 v10, s66, v10                                // 000000006BDC: 68141442
	v_mfma_f32_16x16x32_f16 v[36:39], v[240:243], a[16:19], v[36:39]// 000000006BE0: D3D40024 149221F0
	ds_read_b128 v[248:251], v17 offset:53248                  // 000000006BE8: D9FED000 F8000011
	ds_read_b128 v[252:255], v17 offset:54272                  // 000000006BF0: D9FED400 FC000011
	v_mfma_f32_16x16x32_f16 v[36:39], v[244:247], a[20:23], v[36:39]// 000000006BF8: D3D40024 149229F4
	v_mul_f32_e32 v114, s47, v114                              // 000000006C00: 0AE4E42F
	v_mul_f32_e32 v115, s47, v115                              // 000000006C04: 0AE6E62F
	v_mfma_f32_16x16x32_f16 v[40:43], v[224:227], a[24:27], 0  // 000000006C08: D3D40028 120231E0
	ds_read_b128 v[72:75], v12 offset:26624                    // 000000006C10: D9FE6800 4800000C
	ds_read_b128 v[76:79], v12 offset:27648                    // 000000006C18: D9FE6C00 4C00000C
	v_mfma_f32_16x16x32_f16 v[40:43], v[228:231], a[28:31], v[40:43]// 000000006C20: D3D40028 14A239E4
	v_mul_f32_e32 v116, s47, v116                              // 000000006C28: 0AE8E82F
	v_mul_f32_e32 v117, s47, v117                              // 000000006C2C: 0AEAEA2F
	v_mfma_f32_16x16x32_f16 v[40:43], v[232:235], a[32:35], v[40:43]// 000000006C30: D3D40028 14A241E8
	ds_read_b128 v[80:83], v12 offset:28672                    // 000000006C38: D9FE7000 5000000C
	ds_read_b128 v[84:87], v12 offset:29696                    // 000000006C40: D9FE7400 5400000C
	v_mfma_f32_16x16x32_f16 v[40:43], v[236:239], a[36:39], v[40:43]// 000000006C48: D3D40028 14A249EC
	v_mul_f32_e32 v118, s47, v118                              // 000000006C50: 0AECEC2F
	v_mul_f32_e32 v119, s47, v119                              // 000000006C54: 0AEEEE2F
	buffer_atomic_add_f32 v108, v7, s[32:35], 0 offen          // 000000006C58: E1341000 80086C07
	s_waitcnt lgkmcnt(10)                                      // 000000006C60: BF8CCA7F
	v_mfma_f32_16x16x32_f16 v[40:43], v[240:243], a[40:43], v[40:43]// 000000006C64: D3D40028 14A251F0
	ds_read_b64_tr_b16 v[88:89], v13 offset:26624              // 000000006C6C: D9C66800 5800000D
	ds_read_b64_tr_b16 v[90:91], v13 offset:26880              // 000000006C74: D9C66900 5A00000D
	v_mfma_f32_16x16x32_f16 v[40:43], v[244:247], a[44:47], v[40:43]// 000000006C7C: D3D40028 14A259F4
	v_fma_f32 v36, v36, s57, -v104                             // 000000006C84: D1CB0024 85A07324
	v_fma_f32 v37, v37, s57, -v105                             // 000000006C8C: D1CB0025 85A47325
	s_waitcnt lgkmcnt(10)                                      // 000000006C94: BF8CCA7F
	v_mfma_f32_16x16x32_f16 v[44:47], v[224:227], a[48:51], 0  // 000000006C98: D3D4002C 120261E0
	ds_read_b64_tr_b16 v[92:93], v13 offset:27648              // 000000006CA0: D9C66C00 5C00000D
	ds_read_b64_tr_b16 v[94:95], v13 offset:27904              // 000000006CA8: D9C66D00 5E00000D
	v_mfma_f32_16x16x32_f16 v[44:47], v[228:231], a[52:55], v[44:47]// 000000006CB0: D3D4002C 14B269E4
	v_fma_f32 v38, v38, s57, -v106                             // 000000006CB8: D1CB0026 85A87326
	v_fma_f32 v39, v39, s57, -v107                             // 000000006CC0: D1CB0027 85AC7327
	s_waitcnt lgkmcnt(10)                                      // 000000006CC8: BF8CCA7F
	v_mfma_f32_16x16x32_f16 v[44:47], v[232:235], a[56:59], v[44:47]// 000000006CCC: D3D4002C 14B271E8
	ds_read_b64_tr_b16 v[96:97], v13 offset:28672              // 000000006CD4: D9C67000 6000000D
	ds_read_b64_tr_b16 v[98:99], v13 offset:28928              // 000000006CDC: D9C67100 6200000D
	v_mfma_f32_16x16x32_f16 v[44:47], v[236:239], a[60:63], v[44:47]// 000000006CE4: D3D4002C 14B279EC
	v_fma_f32 v40, v40, s57, -v104                             // 000000006CEC: D1CB0028 85A07328
	v_fma_f32 v41, v41, s57, -v105                             // 000000006CF4: D1CB0029 85A47329
	buffer_atomic_add_f32 v109, v8, s[32:35], 0 offen          // 000000006CFC: E1341000 80086D08
	s_waitcnt lgkmcnt(10)                                      // 000000006D04: BF8CCA7F
	v_mfma_f32_16x16x32_f16 v[44:47], v[240:243], v[248:251], v[44:47]// 000000006D08: D3D4002C 04B3F1F0
	ds_read_b64_tr_b16 v[100:101], v13 offset:29696            // 000000006D10: D9C67400 6400000D
	ds_read_b64_tr_b16 v[102:103], v13 offset:29952            // 000000006D18: D9C67500 6600000D
	v_mfma_f32_16x16x32_f16 v[44:47], v[244:247], v[252:255], v[44:47]// 000000006D20: D3D4002C 04B3F9F4
	v_fma_f32 v42, v42, s57, -v106                             // 000000006D28: D1CB002A 85A8732A
	v_fma_f32 v43, v43, s57, -v107                             // 000000006D30: D1CB002B 85AC732B
	s_cmp_lt_i32 s98, 0xc0                                     // 000000006D38: BF04FF62 000000C0
	s_cbranch_scc0 label_0BAD                                  // 000000006D40: BF84004D
	s_cmp_le_i32 s98, 64                                       // 000000006D44: BF05C062
	s_cbranch_scc1 label_0B64                                  // 000000006D48: BF850007
	s_cmp_le_i32 s98, 0x80                                     // 000000006D4C: BF05FF62 00000080
	s_cbranch_scc1 label_0B7C                                  // 000000006D54: BF850017
	s_cmp_lt_i32 s98, 0xc0                                     // 000000006D58: BF04FF62 000000C0
	s_cbranch_scc1 label_0B94                                  // 000000006D60: BF85002C
	s_branch label_0BAD                                        // 000000006D64: BF820044

0000000000006d68 <label_0B64>:
	s_mov_b32 s60, 0                                           // 000000006D68: BEBC0080
	v_and_b32_e32 v32, 15, v0                                  // 000000006D6C: 2640008F
	v_add_u32_e64 v32, v32, s60                                // 000000006D70: D1340020 00007920
	v_mul_i32_i24_e64 v33, s46, 16                             // 000000006D78: D1060021 0001202E
	v_add_u32_e32 v32, v32, v33                                // 000000006D80: 68404320
	v_cmp_lt_u32_e64 s[60:61], v32, s98                        // 000000006D84: D0C9003C 0000C520
	s_nop 1                                                    // 000000006D8C: BF800001
	v_cndmask_b32_e64 v36, v127, v36, s[60:61]                 // 000000006D90: D1000024 00F2497F
	v_cndmask_b32_e64 v37, v127, v37, s[60:61]                 // 000000006D98: D1000025 00F24B7F
	v_cndmask_b32_e64 v38, v127, v38, s[60:61]                 // 000000006DA0: D1000026 00F24D7F
	v_cndmask_b32_e64 v39, v127, v39, s[60:61]                 // 000000006DA8: D1000027 00F24F7F
	s_branch label_0B8F                                        // 000000006DB0: BF820013

0000000000006db4 <label_0B7C>:
	s_mov_b32 s60, 64                                          // 000000006DB4: BEBC00C0
	v_and_b32_e32 v32, 15, v0                                  // 000000006DB8: 2640008F
	v_add_u32_e64 v32, v32, s60                                // 000000006DBC: D1340020 00007920
	v_mul_i32_i24_e64 v33, s46, 16                             // 000000006DC4: D1060021 0001202E
	v_add_u32_e32 v32, v32, v33                                // 000000006DCC: 68404320
	v_cmp_lt_u32_e64 s[60:61], v32, s98                        // 000000006DD0: D0C9003C 0000C520
	s_nop 1                                                    // 000000006DD8: BF800001
	v_cndmask_b32_e64 v40, v127, v40, s[60:61]                 // 000000006DDC: D1000028 00F2517F
	v_cndmask_b32_e64 v41, v127, v41, s[60:61]                 // 000000006DE4: D1000029 00F2537F
	v_cndmask_b32_e64 v42, v127, v42, s[60:61]                 // 000000006DEC: D100002A 00F2557F
	v_cndmask_b32_e64 v43, v127, v43, s[60:61]                 // 000000006DF4: D100002B 00F2577F
	s_branch label_0BA8                                        // 000000006DFC: BF820019

0000000000006e00 <label_0B8F>:
	v_mov_b32_e32 v40, v127                                    // 000000006E00: 7E50037F
	v_mov_b32_e32 v41, v127                                    // 000000006E04: 7E52037F
	v_mov_b32_e32 v42, v127                                    // 000000006E08: 7E54037F
	v_mov_b32_e32 v43, v127                                    // 000000006E0C: 7E56037F
	s_branch label_0BA8                                        // 000000006E10: BF820014

0000000000006e14 <label_0B94>:
	s_mov_b32 s60, 0x80                                        // 000000006E14: BEBC00FF 00000080
	v_and_b32_e32 v32, 15, v0                                  // 000000006E1C: 2640008F
	v_add_u32_e64 v32, v32, s60                                // 000000006E20: D1340020 00007920
	v_mul_i32_i24_e64 v33, s46, 16                             // 000000006E28: D1060021 0001202E
	v_add_u32_e32 v32, v32, v33                                // 000000006E30: 68404320
	v_cmp_lt_u32_e64 s[60:61], v32, s98                        // 000000006E34: D0C9003C 0000C520
	s_nop 1                                                    // 000000006E3C: BF800001
	v_cndmask_b32_e64 v44, v127, v44, s[60:61]                 // 000000006E40: D100002C 00F2597F
	v_cndmask_b32_e64 v45, v127, v45, s[60:61]                 // 000000006E48: D100002D 00F25B7F
	v_cndmask_b32_e64 v46, v127, v46, s[60:61]                 // 000000006E50: D100002E 00F25D7F
	v_cndmask_b32_e64 v47, v127, v47, s[60:61]                 // 000000006E58: D100002F 00F25F7F
	s_branch label_0BAD                                        // 000000006E60: BF820005

0000000000006e64 <label_0BA8>:
	v_mov_b32_e32 v44, v127                                    // 000000006E64: 7E58037F
	v_mov_b32_e32 v45, v127                                    // 000000006E68: 7E5A037F
	v_mov_b32_e32 v46, v127                                    // 000000006E6C: 7E5C037F
	v_mov_b32_e32 v47, v127                                    // 000000006E70: 7E5E037F
	s_branch label_0BAD                                        // 000000006E74: BF820000

0000000000006e78 <label_0BAD>:
	s_waitcnt lgkmcnt(8)                                       // 000000006E78: BF8CC87F
	v_mfma_f32_16x16x32_f16 v[60:63], v[72:75], a[64:67], 0    // 000000006E7C: D3D4003C 12028148
	v_exp_f32_e32 v36, v36                                     // 000000006E84: 7E484124
	v_exp_f32_e32 v37, v37                                     // 000000006E88: 7E4A4125
	v_mfma_f32_16x16x32_f16 v[60:63], v[76:79], a[68:71], v[60:63]// 000000006E8C: D3D4003C 14F2894C
	v_exp_f32_e32 v38, v38                                     // 000000006E94: 7E4C4126
	v_exp_f32_e32 v39, v39                                     // 000000006E98: 7E4E4127
	v_mfma_f32_16x16x32_f16 v[60:63], v[80:83], a[72:75], v[60:63]// 000000006E9C: D3D4003C 14F29150
	ds_read_b64_tr_b16 v[224:225], v13 offset:12288            // 000000006EA4: D9C63000 E000000D
	ds_read_b64_tr_b16 v[226:227], v13 offset:12544            // 000000006EAC: D9C63100 E200000D
	ds_read_b64_tr_b16 v[228:229], v13 offset:13312            // 000000006EB4: D9C63400 E400000D
	ds_read_b64_tr_b16 v[230:231], v13 offset:13568            // 000000006EBC: D9C63500 E600000D
	v_mfma_f32_16x16x32_f16 v[60:63], v[84:87], a[76:79], v[60:63]// 000000006EC4: D3D4003C 14F29954
	v_fma_f32 v44, v44, s57, -v104                             // 000000006ECC: D1CB002C 85A0732C
	v_fma_f32 v45, v45, s57, -v105                             // 000000006ED4: D1CB002D 85A4732D
	v_exp_f32_e32 v40, v40                                     // 000000006EDC: 7E504128
	v_exp_f32_e32 v41, v41                                     // 000000006EE0: 7E524129
	buffer_atomic_add_f32 v110, v9, s[32:35], 0 offen          // 000000006EE4: E1341000 80086E09
	v_mfma_f32_16x16x32_f16 v[64:67], v[72:75], a[80:83], 0    // 000000006EEC: D3D40040 1202A148
	ds_read_b64_tr_b16 v[232:233], v13 offset:14336            // 000000006EF4: D9C63800 E800000D
	ds_read_b64_tr_b16 v[234:235], v13 offset:14592            // 000000006EFC: D9C63900 EA00000D
	ds_read_b64_tr_b16 v[236:237], v13 offset:15360            // 000000006F04: D9C63C00 EC00000D
	ds_read_b64_tr_b16 v[238:239], v13 offset:15616            // 000000006F0C: D9C63D00 EE00000D
	v_mfma_f32_16x16x32_f16 v[64:67], v[76:79], a[84:87], v[64:67]// 000000006F14: D3D40040 1502A94C
	v_fma_f32 v46, v46, s57, -v106                             // 000000006F1C: D1CB002E 85A8732E
	v_fma_f32 v47, v47, s57, -v107                             // 000000006F24: D1CB002F 85AC732F
	v_exp_f32_e32 v42, v42                                     // 000000006F2C: 7E54412A
	v_exp_f32_e32 v43, v43                                     // 000000006F30: 7E56412B
	v_mfma_f32_16x16x32_f16 v[64:67], v[80:83], a[88:91], v[64:67]// 000000006F34: D3D40040 1502B150
	v_exp_f32_e32 v44, v44                                     // 000000006F3C: 7E58412C
	v_exp_f32_e32 v45, v45                                     // 000000006F40: 7E5A412D
	v_mfma_f32_16x16x32_f16 v[64:67], v[84:87], a[92:95], v[64:67]// 000000006F44: D3D40040 1502B954
	v_cvt_pk_f16_f32 v120, v36, v37                            // 000000006F4C: D2670078 00024B24
	v_cvt_pk_f16_f32 v121, v38, v39                            // 000000006F54: D2670079 00024F26
	v_cvt_pk_f16_f32 v122, v40, v41                            // 000000006F5C: D267007A 00025328
	v_cvt_pk_f16_f32 v123, v42, v43                            // 000000006F64: D267007B 0002572A
	v_mfma_f32_16x16x32_f16 v[68:71], v[72:75], a[96:99], 0    // 000000006F6C: D3D40044 1202C148
	v_exp_f32_e32 v46, v46                                     // 000000006F74: 7E5C412E
	v_exp_f32_e32 v47, v47                                     // 000000006F78: 7E5E412F
	v_mfma_f32_16x16x32_f16 v[68:71], v[76:79], a[100:103], v[68:71]// 000000006F7C: D3D40044 1512C94C
	v_permlane16_swap_b32_e32 v120, v122                       // 000000006F84: 7EF0B37A
	v_permlane16_swap_b32_e32 v121, v123                       // 000000006F88: 7EF2B37B
	v_mfma_f32_16x16x32_f16 v[68:71], v[80:83], a[104:107], v[68:71]// 000000006F8C: D3D40044 1512D150
	ds_read_b64_tr_b16 v[240:241], v13 offset:16384            // 000000006F94: D9C64000 F000000D
	ds_read_b64_tr_b16 v[242:243], v13 offset:16640            // 000000006F9C: D9C64100 F200000D
	ds_read_b64_tr_b16 v[244:245], v13 offset:17408            // 000000006FA4: D9C64400 F400000D
	ds_read_b64_tr_b16 v[246:247], v13 offset:17664            // 000000006FAC: D9C64500 F600000D
	v_mfma_f32_16x16x32_f16 v[68:71], v[84:87], a[108:111], v[68:71]// 000000006FB4: D3D40044 1512D954
	v_cvt_pk_f16_f32 v124, v44, v45                            // 000000006FBC: D267007C 00025B2C
	v_cvt_pk_f16_f32 v125, v46, v47                            // 000000006FC4: D267007D 00025F2E
	buffer_atomic_add_f32 v111, v10, s[32:35], 0 offen         // 000000006FCC: E1341000 80086F0A
	s_waitcnt lgkmcnt(12)                                      // 000000006FD4: BF8CCC7F
	v_mfma_f32_32x32x16_f16 v[128:143], v[88:91], v[120:123], v[128:143]// 000000006FD8: D3D50080 0602F158
	ds_read_b64_tr_b16 a[0:1], v19                             // 000000006FE0: DBC60000 00000013
	ds_read_b64_tr_b16 a[2:3], v19 offset:256                  // 000000006FE8: DBC60100 02000013
	ds_read_b64_tr_b16 a[4:5], v19 offset:12288                // 000000006FF0: DBC63000 04000013
	ds_read_b64_tr_b16 a[6:7], v19 offset:12544                // 000000006FF8: DBC63100 06000013
	ds_read_b64_tr_b16 a[8:9], v19 offset:24576                // 000000007000: DBC66000 08000013
	buffer_atomic_add_f32 v112, v7, s[32:35], 0 offen offset:64// 000000007008: E1341040 80087007
	v_mfma_f32_32x32x16_f16 v[144:159], v[92:95], v[120:123], v[144:159]// 000000007010: D3D50090 0642F15C
	v_subrev_f32_dpp v60, v126, v60 quad_perm:[0,0,0,0] row_mask:0xf bank_mask:0xf// 000000007018: 067878FA FF00007E
	v_subrev_f32_dpp v61, v126, v61 quad_perm:[1,1,1,1] row_mask:0xf bank_mask:0xf// 000000007020: 067A7AFA FF00557E
	v_subrev_f32_dpp v62, v126, v62 quad_perm:[2,2,2,2] row_mask:0xf bank_mask:0xf// 000000007028: 067C7CFA FF00AA7E
	v_subrev_f32_dpp v63, v126, v63 quad_perm:[3,3,3,3] row_mask:0xf bank_mask:0xf// 000000007030: 067E7EFA FF00FF7E
	v_subrev_f32_dpp v64, v126, v64 quad_perm:[0,0,0,0] row_mask:0xf bank_mask:0xf// 000000007038: 068080FA FF00007E
	v_subrev_f32_dpp v65, v126, v65 quad_perm:[1,1,1,1] row_mask:0xf bank_mask:0xf// 000000007040: 068282FA FF00557E
	v_subrev_f32_dpp v66, v126, v66 quad_perm:[2,2,2,2] row_mask:0xf bank_mask:0xf// 000000007048: 068484FA FF00AA7E
	v_subrev_f32_dpp v67, v126, v67 quad_perm:[3,3,3,3] row_mask:0xf bank_mask:0xf// 000000007050: 068686FA FF00FF7E
	v_mul_f32_e32 v60, v36, v60                                // 000000007058: 0A787924
	v_mul_f32_e32 v61, v37, v61                                // 00000000705C: 0A7A7B25
	v_mul_f32_e32 v62, v38, v62                                // 000000007060: 0A7C7D26
	v_mul_f32_e32 v63, v39, v63                                // 000000007064: 0A7E7F27
	v_mfma_f32_32x32x16_f16 v[160:175], v[96:99], v[120:123], v[160:175]// 000000007068: D3D500A0 0682F160
	ds_read_b64_tr_b16 a[10:11], v19 offset:24832              // 000000007070: DBC66100 0A000013
	ds_read_b64_tr_b16 a[12:13], v19 offset:36864              // 000000007078: DBC69000 0C000013
	ds_read_b64_tr_b16 a[14:15], v19 offset:37120              // 000000007080: DBC69100 0E000013
	ds_read_b64_tr_b16 a[16:17], v19 offset:49152              // 000000007088: DBC6C000 10000013
	ds_read_b64_tr_b16 a[18:19], v19 offset:49408              // 000000007090: DBC6C100 12000013
	ds_read_b32 v104, v16 offset:37632                         // 000000007098: D86C9300 68000010
	v_mfma_f32_32x32x16_f16 v[176:191], v[100:103], v[120:123], v[176:191]// 0000000070A0: D3D500B0 06C2F164
	v_mul_f32_e32 v64, v40, v64                                // 0000000070A8: 0A808128
	v_mul_f32_e32 v65, v41, v65                                // 0000000070AC: 0A828329
	v_mul_f32_e32 v66, v42, v66                                // 0000000070B0: 0A84852A
	v_mul_f32_e32 v67, v43, v67                                // 0000000070B4: 0A86872B
	v_permlane16_swap_b32_e32 v88, v90                         // 0000000070B8: 7EB0B35A
	v_permlane16_swap_b32_e32 v89, v91                         // 0000000070BC: 7EB2B35B
	v_cvt_pk_f16_f32 v60, v60, v61                             // 0000000070C0: D267003C 00027B3C
	v_cvt_pk_f16_f32 v61, v62, v63                             // 0000000070C8: D267003D 00027F3E
	v_cvt_pk_f16_f32 v62, v64, v65                             // 0000000070D0: D267003E 00028340
	v_cvt_pk_f16_f32 v63, v66, v67                             // 0000000070D8: D267003F 00028742
	v_permlane16_swap_b32_e32 v92, v94                         // 0000000070E0: 7EB8B35E
	v_permlane16_swap_b32_e32 v93, v95                         // 0000000070E4: 7EBAB35F
	v_mfma_f32_16x16x16_f16 v[192:195], v[88:89], v[124:125], v[192:195]// 0000000070E8: D3CD00C0 0702F958
	buffer_atomic_add_f32 v113, v8, s[32:35], 0 offen offset:64// 0000000070F0: E1341040 80087108
	ds_write_b64 v15, v[60:61] offset:30720                    // 0000000070F8: D89A7800 00003C0F
	ds_write_b64 v15, v[62:63] offset:33024                    // 000000007100: D89A8100 00003E0F
	v_mfma_f32_16x16x16_f16 v[196:199], v[90:91], v[124:125], v[196:199]// 000000007108: D3CD00C4 0712F95A
	v_permlane16_swap_b32_e32 v96, v98                         // 000000007110: 7EC0B362
	v_permlane16_swap_b32_e32 v97, v99                         // 000000007114: 7EC2B363
	v_subrev_f32_dpp v68, v126, v68 quad_perm:[0,0,0,0] row_mask:0xf bank_mask:0xf// 000000007118: 068888FA FF00007E
	v_subrev_f32_dpp v69, v126, v69 quad_perm:[1,1,1,1] row_mask:0xf bank_mask:0xf// 000000007120: 068A8AFA FF00557E
	v_mfma_f32_16x16x16_f16 v[200:203], v[92:93], v[124:125], v[200:203]// 000000007128: D3CD00C8 0722F95C
	v_permlane16_swap_b32_e32 v100, v102                       // 000000007130: 7EC8B366
	v_permlane16_swap_b32_e32 v101, v103                       // 000000007134: 7ECAB367
	v_subrev_f32_dpp v70, v126, v70 quad_perm:[2,2,2,2] row_mask:0xf bank_mask:0xf// 000000007138: 068C8CFA FF00AA7E
	v_subrev_f32_dpp v71, v126, v71 quad_perm:[3,3,3,3] row_mask:0xf bank_mask:0xf// 000000007140: 068E8EFA FF00FF7E
	v_mfma_f32_16x16x16_f16 v[204:207], v[94:95], v[124:125], v[204:207]// 000000007148: D3CD00CC 0732F95E
	v_permlane16_swap_b32_e32 v60, v62                         // 000000007150: 7E78B33E
	v_permlane16_swap_b32_e32 v61, v63                         // 000000007154: 7E7AB33F
	v_mfma_f32_16x16x16_f16 v[208:211], v[96:97], v[124:125], v[208:211]// 000000007158: D3CD00D0 0742F960
	ds_read_b64_tr_b16 a[20:21], v19 offset:61440              // 000000007160: DBC6F000 14000013
	ds_read_b64_tr_b16 a[22:23], v19 offset:61696              // 000000007168: DBC6F100 16000013
	ds_read_b64_tr_b16 a[24:25], v20                           // 000000007170: DBC60000 18000014
	v_mfma_f32_16x16x16_f16 v[212:215], v[98:99], v[124:125], v[212:215]// 000000007178: D3CD00D4 0752F962
	v_mul_f32_e32 v68, v44, v68                                // 000000007180: 0A88892C
	v_mul_f32_e32 v69, v45, v69                                // 000000007184: 0A8A8B2D
	v_mul_f32_e32 v70, v46, v70                                // 000000007188: 0A8C8D2E
	v_mfma_f32_16x16x16_f16 v[216:219], v[100:101], v[124:125], v[216:219]// 00000000718C: D3CD00D8 0762F964
	ds_read_b32 v126, v16 offset:37888                         // 000000007194: D86C9400 7E000010
	ds_read_b64_tr_b16 a[26:27], v20 offset:256                // 00000000719C: DBC60100 1A000014
	ds_read_b64_tr_b16 a[28:29], v20 offset:12288              // 0000000071A4: DBC63000 1C000014
	v_mfma_f32_16x16x16_f16 v[220:223], v[102:103], v[124:125], v[220:223]// 0000000071AC: D3CD00DC 0772F966
	v_mul_f32_e32 v71, v47, v71                                // 0000000071B4: 0A8E8F2F
	v_cvt_pk_f16_f32 v64, v68, v69                             // 0000000071B8: D2670040 00028B44
	v_cvt_pk_f16_f32 v65, v70, v71                             // 0000000071C0: D2670041 00028F46
	s_waitcnt lgkmcnt(8)                                       // 0000000071C8: BF8CC87F
	v_mfma_f32_32x32x16_f16 a[112:127], v[224:227], v[60:63], a[112:127]// 0000000071CC: D3D58070 05C279E0
	ds_read_b64_tr_b16 a[30:31], v20 offset:12544              // 0000000071D4: DBC63100 1E000014
	ds_write_b64 v15, v[64:65] offset:35328                    // 0000000071DC: D89A8A00 0000400F
	ds_read_b64_tr_b16 a[32:33], v20 offset:24576              // 0000000071E4: DBC66000 20000014
	ds_read_b64_tr_b16 a[34:35], v20 offset:24832              // 0000000071EC: DBC66100 22000014
	v_mfma_f32_32x32x16_f16 a[128:143], v[228:231], v[60:63], a[128:143]// 0000000071F4: D3D58080 060279E4
	v_mul_f32_e32 v104, s48, v104                              // 0000000071FC: 0AD0D030
	buffer_atomic_add_f32 v114, v9, s[32:35], 0 offen offset:64// 000000007200: E1341040 80087209
	v_mfma_f32_32x32x16_f16 a[144:159], v[232:235], v[60:63], a[144:159]// 000000007208: D3D58090 064279E8
	ds_read_b64_tr_b16 a[36:37], v20 offset:36864              // 000000007210: DBC69000 24000014
	ds_read_b64_tr_b16 a[38:39], v20 offset:37120              // 000000007218: DBC69100 26000014
	ds_read_b64_tr_b16 a[40:41], v20 offset:49152              // 000000007220: DBC6C000 28000014
	ds_read_b64_tr_b16 a[42:43], v20 offset:49408              // 000000007228: DBC6C100 2A000014
	ds_read_b64_tr_b16 a[44:45], v20 offset:61440              // 000000007230: DBC6F000 2C000014
	ds_read_b64_tr_b16 a[46:47], v20 offset:61696              // 000000007238: DBC6F100 2E000014
	v_mfma_f32_32x32x16_f16 a[160:175], v[236:239], v[60:63], a[160:175]// 000000007240: D3D580A0 068279EC
	.long 0x7fc0b3e2                                           // 000000007248: 7FC0B3E2
	.long 0x7fc2b3e3                                           // 00000000724C: 7FC2B3E3
	buffer_atomic_add_f32 v115, v10, s[32:35], 0 offen offset:64// 000000007250: E1341040 8008730A
	s_waitcnt lgkmcnt(8)                                       // 000000007258: BF8CC87F
	s_barrier                                                  // 00000000725C: BF8A0000
	v_mfma_f32_32x32x16_f16 a[176:191], v[240:243], v[60:63], a[176:191]// 000000007260: D3D580B0 06C279F0
	ds_read_b64_tr_b16 v[36:37], v14 offset:30720              // 000000007268: D9C67800 2400000E
	ds_read_b64_tr_b16 v[38:39], v14 offset:30752              // 000000007270: D9C67820 2600000E
	ds_read_b64_tr_b16 v[40:41], v14 offset:31872              // 000000007278: D9C67C80 2800000E
	ds_read_b64_tr_b16 v[42:43], v14 offset:31904              // 000000007280: D9C67CA0 2A00000E
	ds_read_b64_tr_b16 v[44:45], v14 offset:33024              // 000000007288: D9C68100 2C00000E
	ds_read_b64_tr_b16 v[46:47], v14 offset:33056              // 000000007290: D9C68120 2E00000E
	v_mfma_f32_32x32x16_f16 a[192:207], v[244:247], v[60:63], a[192:207]// 000000007298: D3D580C0 070279F4
	.long 0x7fc8b3e6                                           // 0000000072A0: 7FC8B3E6
	.long 0x7fcab3e7                                           // 0000000072A4: 7FCAB3E7
	v_mov_b32_dpp v107, v104 quad_perm:[3,3,3,3] row_mask:0xf bank_mask:0xf// 0000000072A8: 7ED602FA FF00FF68
	v_mov_b32_dpp v106, v104 quad_perm:[2,2,2,2] row_mask:0xf bank_mask:0xf// 0000000072B0: 7ED402FA FF00AA68
	buffer_atomic_add_f32 v116, v7, s[32:35], 0 offen offset:128// 0000000072B8: E1341080 80087407
	v_mfma_f32_16x16x16_f16 a[208:211], v[224:225], v[64:65], a[208:211]// 0000000072C0: D3CD80D0 074281E0
	ds_read_b64_tr_b16 v[48:49], v14 offset:34176              // 0000000072C8: D9C68580 3000000E
	ds_read_b64_tr_b16 v[50:51], v14 offset:34208              // 0000000072D0: D9C685A0 3200000E
	ds_read_b64_tr_b16 v[52:53], v14 offset:35328              // 0000000072D8: D9C68A00 3400000E
	v_mfma_f32_16x16x16_f16 a[212:215], v[226:227], v[64:65], a[212:215]// 0000000072E0: D3CD80D4 075281E2
	.long 0x7fd0b3ea                                           // 0000000072E8: 7FD0B3EA
	.long 0x7fd2b3eb                                           // 0000000072EC: 7FD2B3EB
	v_mfma_f32_16x16x16_f16 a[216:219], v[228:229], v[64:65], a[216:219]// 0000000072F0: D3CD80D8 076281E4
	ds_read_b64_tr_b16 v[54:55], v14 offset:35360              // 0000000072F8: D9C68A20 3600000E
	ds_read_b64_tr_b16 v[56:57], v14 offset:36480              // 000000007300: D9C68E80 3800000E
	ds_read_b64_tr_b16 v[58:59], v14 offset:36512              // 000000007308: D9C68EA0 3A00000E
	v_mfma_f32_16x16x16_f16 a[220:223], v[230:231], v[64:65], a[220:223]// 000000007310: D3CD80DC 077281E6
	v_permlane16_swap_b32_e32 v236, v238                       // 000000007318: 7FD8B3EE
	v_permlane16_swap_b32_e32 v237, v239                       // 00000000731C: 7FDAB3EF
	buffer_atomic_add_f32 v117, v8, s[32:35], 0 offen offset:128// 000000007320: E1341080 80087508
	v_mfma_f32_16x16x16_f16 a[224:227], v[232:233], v[64:65], a[224:227]// 000000007328: D3CD80E0 078281E8
	ds_read_b64_tr_b16 a[48:49], v21                           // 000000007330: DBC60000 30000015
	ds_read_b64_tr_b16 a[50:51], v21 offset:256                // 000000007338: DBC60100 32000015
	ds_read_b64_tr_b16 a[52:53], v21 offset:12288              // 000000007340: DBC63000 34000015
	v_mfma_f32_16x16x16_f16 a[228:231], v[234:235], v[64:65], a[228:231]// 000000007348: D3CD80E4 079281EA
	v_permlane16_swap_b32_e32 v240, v242                       // 000000007350: 7FE0B3F2
	v_permlane16_swap_b32_e32 v241, v243                       // 000000007354: 7FE2B3F3
	v_mfma_f32_16x16x16_f16 a[232:235], v[236:237], v[64:65], a[232:235]// 000000007358: D3CD80E8 07A281EC
	ds_read_b64_tr_b16 a[54:55], v21 offset:12544              // 000000007360: DBC63100 36000015
	ds_read_b64_tr_b16 a[56:57], v21 offset:24576              // 000000007368: DBC66000 38000015
	ds_read_b64_tr_b16 a[58:59], v21 offset:24832              // 000000007370: DBC66100 3A000015
	v_mfma_f32_16x16x16_f16 a[236:239], v[238:239], v[64:65], a[236:239]// 000000007378: D3CD80EC 07B281EE
	v_permlane16_swap_b32_e32 v244, v246                       // 000000007380: 7FE8B3F6
	v_permlane16_swap_b32_e32 v245, v247                       // 000000007384: 7FEAB3F7
	v_mfma_f32_16x16x16_f16 a[240:243], v[240:241], v[64:65], a[240:243]// 000000007388: D3CD80F0 07C281F0
	ds_read_b64_tr_b16 a[60:61], v21 offset:36864              // 000000007390: DBC69000 3C000015
	ds_read_b64_tr_b16 a[62:63], v21 offset:37120              // 000000007398: DBC69100 3E000015
	ds_read_b64_tr_b16 v[248:249], v21 offset:49152            // 0000000073A0: D9C6C000 F8000015
	v_mfma_f32_16x16x16_f16 a[244:247], v[242:243], v[64:65], a[244:247]// 0000000073A8: D3CD80F4 07D281F2
	v_mov_b32_dpp v105, v104 quad_perm:[1,1,1,1] row_mask:0xf bank_mask:0xf// 0000000073B0: 7ED202FA FF005568
	buffer_atomic_add_f32 v118, v9, s[32:35], 0 offen offset:128// 0000000073B8: E1341080 80087609
	v_mfma_f32_16x16x16_f16 a[248:251], v[244:245], v[64:65], a[248:251]// 0000000073C0: D3CD80F8 07E281F4
	ds_read_b64_tr_b16 v[250:251], v21 offset:49408            // 0000000073C8: D9C6C100 FA000015
	ds_read_b64_tr_b16 v[252:253], v21 offset:61440            // 0000000073D0: D9C6F000 FC000015
	ds_read_b64_tr_b16 v[254:255], v21 offset:61696            // 0000000073D8: D9C6F100 FE000015
	v_mfma_f32_16x16x16_f16 a[252:255], v[246:247], v[64:65], a[252:255]// 0000000073E0: D3CD80FC 07F281F6
	v_mov_b32_dpp v104, v104 quad_perm:[0,0,0,0] row_mask:0xf bank_mask:0xf// 0000000073E8: 7ED002FA FF000068
	buffer_atomic_add_f32 v119, v10, s[32:35], 0 offen offset:128// 0000000073F0: E1341080 8008770A
	s_waitcnt vmcnt(12) lgkmcnt(6)                             // 0000000073F8: BF8C067C
	s_barrier                                                  // 0000000073FC: BF8A0000
	v_mfma_f32_16x16x32_f16 v[108:111], v[36:39], a[0:3], 0    // 000000007400: D3D4006C 12020124
	ds_read_b128 v[224:227], v12                               // 000000007408: D9FE0000 E000000C
	ds_read_b128 v[228:231], v12 offset:1024                   // 000000007410: D9FE0400 E400000C
	v_mfma_f32_16x16x32_f16 v[108:111], v[40:43], a[4:7], v[108:111]// 000000007418: D3D4006C 15B20928
	s_mov_b32 m0, s83                                          // 000000007420: BEFC0053
	buffer_load_dwordx4 v1, s[8:11], 0 idxen lds               // 000000007424: E05D2000 80020001
	v_mfma_f32_16x16x32_f16 v[108:111], v[44:47], a[8:11], v[108:111]// 00000000742C: D3D4006C 15B2112C
	ds_read_b128 v[232:235], v12 offset:2048                   // 000000007434: D9FE0800 E800000C
	ds_read_b128 v[236:239], v12 offset:3072                   // 00000000743C: D9FE0C00 EC00000C
	v_mfma_f32_16x16x32_f16 v[108:111], v[48:51], a[12:15], v[108:111]// 000000007444: D3D4006C 15B21930
	s_mov_b32 m0, s84                                          // 00000000744C: BEFC0054
	buffer_load_dword v2, s[8:11], 0 idxen lds                 // 000000007450: E0512000 80020002
	v_mfma_f32_16x16x32_f16 v[108:111], v[52:55], a[16:19], v[108:111]// 000000007458: D3D4006C 15B22134
	ds_read_b128 v[240:243], v12 offset:4096                   // 000000007460: D9FE1000 F000000C
	ds_read_b128 v[244:247], v12 offset:5120                   // 000000007468: D9FE1400 F400000C
	v_mfma_f32_16x16x32_f16 v[108:111], v[56:59], a[20:23], v[108:111]// 000000007470: D3D4006C 15B22938
	s_mov_b32 m0, s85                                          // 000000007478: BEFC0055
	buffer_load_dword v3, s[8:11], 0 idxen lds                 // 00000000747C: E0512000 80020003
	v_mfma_f32_16x16x32_f16 v[112:115], v[36:39], a[24:27], 0  // 000000007484: D3D40070 12023124
	ds_read_b128 a[0:3], v17                                   // 00000000748C: DBFE0000 00000011
	ds_read_b128 a[4:7], v17 offset:1024                       // 000000007494: DBFE0400 04000011
	v_mfma_f32_16x16x32_f16 v[112:115], v[40:43], a[28:31], v[112:115]// 00000000749C: D3D40070 15C23928
	s_mov_b32 m0, s88                                          // 0000000074A4: BEFC0058
	buffer_load_dwordx4 v4, s[20:23], 0 idxen lds              // 0000000074A8: E05D2000 80050004
	v_mfma_f32_16x16x32_f16 v[112:115], v[44:47], a[32:35], v[112:115]// 0000000074B0: D3D40070 15C2412C
	ds_read_b128 a[8:11], v17 offset:2048                      // 0000000074B8: DBFE0800 08000011
	ds_read_b128 a[12:15], v17 offset:3072                     // 0000000074C0: DBFE0C00 0C000011
	v_mfma_f32_16x16x32_f16 v[112:115], v[48:51], a[36:39], v[112:115]// 0000000074C8: D3D40070 15C24930
	v_mul_f32_e32 v108, s47, v108                              // 0000000074D0: 0AD8D82F
	v_mul_f32_e32 v109, s47, v109                              // 0000000074D4: 0ADADA2F
	s_mov_b32 m0, s76                                          // 0000000074D8: BEFC004C
	buffer_load_dword v11, s[24:27], 0 idxen lds               // 0000000074DC: E0512000 8006000B
	v_mfma_f32_16x16x32_f16 v[112:115], v[52:55], a[40:43], v[112:115]// 0000000074E4: D3D40070 15C25134
	ds_read_b128 a[16:19], v17 offset:4096                     // 0000000074EC: DBFE1000 10000011
	ds_read_b128 a[20:23], v17 offset:5120                     // 0000000074F4: DBFE1400 14000011
	v_mfma_f32_16x16x32_f16 v[112:115], v[56:59], a[44:47], v[112:115]// 0000000074FC: D3D40070 15C25938
	s_add_u32 s60, 64, s59                                     // 000000007504: 803C3BC0
	s_cmp_lt_u32 s60, s58                                      // 000000007508: BF0A3A3C
	s_cselect_b32 s68, s68, 0                                  // 00000000750C: 85448044
	s_cselect_b32 s97, s97, 0                                  // 000000007510: 85618061
	s_cselect_b32 s69, s69, 0                                  // 000000007514: 85458045
	v_mfma_f32_16x16x32_f16 v[116:119], v[36:39], a[48:51], 0  // 000000007518: D3D40074 12026124
	ds_read_b128 a[24:27], v17 offset:24576                    // 000000007520: DBFE6000 18000011
	ds_read_b128 a[28:31], v17 offset:25600                    // 000000007528: DBFE6400 1C000011
	v_mfma_f32_16x16x32_f16 v[116:119], v[40:43], a[52:55], v[116:119]// 000000007530: D3D40074 15D26928
	v_add_u32_e32 v1, s68, v1                                  // 000000007538: 68020244
	v_add_u32_e32 v2, s68, v2                                  // 00000000753C: 68040444
	v_add_u32_e32 v3, s68, v3                                  // 000000007540: 68060644
	v_add_u32_e32 v4, s97, v4                                  // 000000007544: 68080861
	v_add_u32_e32 v11, s69, v11                                // 000000007548: 68161645
	s_waitcnt lgkmcnt(14)                                      // 00000000754C: BF8CCE7F
	v_mfma_f32_16x16x32_f16 v[116:119], v[44:47], a[56:59], v[116:119]// 000000007550: D3D40074 15D2712C
	ds_read_b128 a[32:35], v17 offset:26624                    // 000000007558: DBFE6800 20000011
	ds_read_b128 a[36:39], v17 offset:27648                    // 000000007560: DBFE6C00 24000011
	v_mfma_f32_16x16x32_f16 v[116:119], v[48:51], a[60:63], v[116:119]// 000000007568: D3D40074 15D27930
	v_mul_f32_e32 v110, s47, v110                              // 000000007570: 0ADCDC2F
	v_mul_f32_e32 v111, s47, v111                              // 000000007574: 0ADEDE2F
	s_cmp_ge_u32 s59, 16                                       // 000000007578: BF09903B
	s_cselect_b32 s66, s67, s66                                // 00000000757C: 85424243
	v_mfma_f32_16x16x32_f16 v[116:119], v[52:55], v[248:251], v[116:119]// 000000007580: D3D40074 05D3F134
	ds_read_b128 a[40:43], v17 offset:28672                    // 000000007588: DBFE7000 28000011
	ds_read_b128 a[44:47], v17 offset:29696                    // 000000007590: DBFE7400 2C000011
	v_mfma_f32_16x16x32_f16 v[116:119], v[56:59], v[252:255], v[116:119]// 000000007598: D3D40074 05D3F938
	s_addk_i32 s59, 0x10                                       // 0000000075A0: B73B0010
	v_mul_f32_e32 v112, s47, v112                              // 0000000075A4: 0AE0E02F
	v_mul_f32_e32 v113, s47, v113                              // 0000000075A8: 0AE2E22F
	s_cmp_lt_i32 s59, s58                                      // 0000000075AC: BF043A3B
	s_cbranch_scc0 label_0D7D                                  // 0000000075B0: BF840001
	s_branch label_05CF                                        // 0000000075B4: BF82F861

00000000000075b8 <label_0D7D>:
	s_nop 0                                                    // 0000000075B8: BF800000
	s_nop 0                                                    // 0000000075BC: BF800000
	s_branch label_152E                                        // 0000000075C0: BF82079F

00000000000075c4 <label_0D80>:
	s_waitcnt lgkmcnt(2)                                       // 0000000075C4: BF8CC27F
	v_mfma_f32_16x16x32_f16 v[36:39], v[224:227], a[0:3], 0    // 0000000075C8: D3D40024 120201E0
	v_add_u32_e32 v7, s66, v7                                  // 0000000075D0: 680E0E42
	v_add_u32_e32 v8, s66, v8                                  // 0000000075D4: 68101042
	v_mfma_f32_16x16x32_f16 v[36:39], v[228:231], a[4:7], v[36:39]// 0000000075D8: D3D40024 149209E4
	ds_read_b128 a[48:51], v17 offset:49152                    // 0000000075E0: DBFEC000 30000011
	ds_read_b128 a[52:55], v17 offset:50176                    // 0000000075E8: DBFEC400 34000011
	v_mfma_f32_16x16x32_f16 v[36:39], v[232:235], a[8:11], v[36:39]// 0000000075F0: D3D40024 149211E8
	v_add_u32_e32 v9, s66, v9                                  // 0000000075F8: 68121242
	v_add_u32_e32 v10, s66, v10                                // 0000000075FC: 68141442
	v_mfma_f32_16x16x32_f16 v[36:39], v[236:239], a[12:15], v[36:39]// 000000007600: D3D40024 149219EC
	ds_read_b128 a[56:59], v17 offset:51200                    // 000000007608: DBFEC800 38000011
	ds_read_b128 a[60:63], v17 offset:52224                    // 000000007610: DBFECC00 3C000011
	v_mfma_f32_16x16x32_f16 v[36:39], v[240:243], a[16:19], v[36:39]// 000000007618: D3D40024 149221F0
	v_mul_f32_e32 v114, s47, v114                              // 000000007620: 0AE4E42F
	v_mul_f32_e32 v115, s47, v115                              // 000000007624: 0AE6E62F
	v_mfma_f32_16x16x32_f16 v[36:39], v[244:247], a[20:23], v[36:39]// 000000007628: D3D40024 149229F4
	ds_read_b128 v[248:251], v17 offset:53248                  // 000000007630: D9FED000 F8000011
	ds_read_b128 v[252:255], v17 offset:54272                  // 000000007638: D9FED400 FC000011
	v_mfma_f32_16x16x32_f16 v[40:43], v[224:227], a[24:27], 0  // 000000007640: D3D40028 120231E0
	v_mul_f32_e32 v116, s47, v116                              // 000000007648: 0AE8E82F
	v_mul_f32_e32 v117, s47, v117                              // 00000000764C: 0AEAEA2F
	v_mfma_f32_16x16x32_f16 v[40:43], v[228:231], a[28:31], v[40:43]// 000000007650: D3D40028 14A239E4
	ds_read_b128 v[72:75], v12 offset:18432                    // 000000007658: D9FE4800 4800000C
	ds_read_b128 v[76:79], v12 offset:19456                    // 000000007660: D9FE4C00 4C00000C
	v_mfma_f32_16x16x32_f16 v[40:43], v[232:235], a[32:35], v[40:43]// 000000007668: D3D40028 14A241E8
	v_mul_f32_e32 v118, s47, v118                              // 000000007670: 0AECEC2F
	v_mul_f32_e32 v119, s47, v119                              // 000000007674: 0AEEEE2F
	buffer_atomic_add_f32 v108, v7, s[32:35], 0 offen          // 000000007678: E1341000 80086C07
	v_mfma_f32_16x16x32_f16 v[40:43], v[236:239], a[36:39], v[40:43]// 000000007680: D3D40028 14A249EC
	ds_read_b128 v[80:83], v12 offset:20480                    // 000000007688: D9FE5000 5000000C
	ds_read_b128 v[84:87], v12 offset:21504                    // 000000007690: D9FE5400 5400000C
	s_waitcnt lgkmcnt(10)                                      // 000000007698: BF8CCA7F
	v_mfma_f32_16x16x32_f16 v[40:43], v[240:243], a[40:43], v[40:43]// 00000000769C: D3D40028 14A251F0
	v_fma_f32 v36, v36, s57, -v104                             // 0000000076A4: D1CB0024 85A07324
	v_fma_f32 v37, v37, s57, -v105                             // 0000000076AC: D1CB0025 85A47325
	v_mfma_f32_16x16x32_f16 v[40:43], v[244:247], a[44:47], v[40:43]// 0000000076B4: D3D40028 14A259F4
	ds_read_b64_tr_b16 v[88:89], v13 offset:18432              // 0000000076BC: D9C64800 5800000D
	ds_read_b64_tr_b16 v[90:91], v13 offset:18688              // 0000000076C4: D9C64900 5A00000D
	s_waitcnt lgkmcnt(10)                                      // 0000000076CC: BF8CCA7F
	v_mfma_f32_16x16x32_f16 v[44:47], v[224:227], a[48:51], 0  // 0000000076D0: D3D4002C 120261E0
	v_fma_f32 v38, v38, s57, -v106                             // 0000000076D8: D1CB0026 85A87326
	v_fma_f32 v39, v39, s57, -v107                             // 0000000076E0: D1CB0027 85AC7327
	v_mfma_f32_16x16x32_f16 v[44:47], v[228:231], a[52:55], v[44:47]// 0000000076E8: D3D4002C 14B269E4
	ds_read_b64_tr_b16 v[92:93], v13 offset:19456              // 0000000076F0: D9C64C00 5C00000D
	ds_read_b64_tr_b16 v[94:95], v13 offset:19712              // 0000000076F8: D9C64D00 5E00000D
	s_waitcnt lgkmcnt(10)                                      // 000000007700: BF8CCA7F
	v_mfma_f32_16x16x32_f16 v[44:47], v[232:235], a[56:59], v[44:47]// 000000007704: D3D4002C 14B271E8
	v_fma_f32 v40, v40, s57, -v104                             // 00000000770C: D1CB0028 85A07328
	v_fma_f32 v41, v41, s57, -v105                             // 000000007714: D1CB0029 85A47329
	buffer_atomic_add_f32 v109, v8, s[32:35], 0 offen          // 00000000771C: E1341000 80086D08
	v_mfma_f32_16x16x32_f16 v[44:47], v[236:239], a[60:63], v[44:47]// 000000007724: D3D4002C 14B279EC
	ds_read_b64_tr_b16 v[96:97], v13 offset:20480              // 00000000772C: D9C65000 6000000D
	ds_read_b64_tr_b16 v[98:99], v13 offset:20736              // 000000007734: D9C65100 6200000D
	s_waitcnt lgkmcnt(10)                                      // 00000000773C: BF8CCA7F
	v_mfma_f32_16x16x32_f16 v[44:47], v[240:243], v[248:251], v[44:47]// 000000007740: D3D4002C 04B3F1F0
	v_fma_f32 v42, v42, s57, -v106                             // 000000007748: D1CB002A 85A8732A
	v_fma_f32 v43, v43, s57, -v107                             // 000000007750: D1CB002B 85AC732B
	v_mfma_f32_16x16x32_f16 v[44:47], v[244:247], v[252:255], v[44:47]// 000000007758: D3D4002C 04B3F9F4
	ds_read_b64_tr_b16 v[100:101], v13 offset:21504            // 000000007760: D9C65400 6400000D
	ds_read_b64_tr_b16 v[102:103], v13 offset:21760            // 000000007768: D9C65500 6600000D
	s_cmp_lt_i32 s98, 0xc0                                     // 000000007770: BF04FF62 000000C0
	s_cbranch_scc0 label_0E40                                  // 000000007778: BF84004D
	s_cmp_le_i32 s98, 64                                       // 00000000777C: BF05C062
	s_cbranch_scc1 label_0DF7                                  // 000000007780: BF850007
	s_cmp_le_i32 s98, 0x80                                     // 000000007784: BF05FF62 00000080
	s_cbranch_scc1 label_0E0F                                  // 00000000778C: BF850017
	s_cmp_lt_i32 s98, 0xc0                                     // 000000007790: BF04FF62 000000C0
	s_cbranch_scc1 label_0E27                                  // 000000007798: BF85002C
	s_branch label_0E40                                        // 00000000779C: BF820044

00000000000077a0 <label_0DF7>:
	s_mov_b32 s60, 0                                           // 0000000077A0: BEBC0080
	v_and_b32_e32 v32, 15, v0                                  // 0000000077A4: 2640008F
	v_add_u32_e64 v32, v32, s60                                // 0000000077A8: D1340020 00007920
	v_mul_i32_i24_e64 v33, s46, 16                             // 0000000077B0: D1060021 0001202E
	v_add_u32_e32 v32, v32, v33                                // 0000000077B8: 68404320
	v_cmp_lt_u32_e64 s[60:61], v32, s98                        // 0000000077BC: D0C9003C 0000C520
	s_nop 1                                                    // 0000000077C4: BF800001
	v_cndmask_b32_e64 v36, v127, v36, s[60:61]                 // 0000000077C8: D1000024 00F2497F
	v_cndmask_b32_e64 v37, v127, v37, s[60:61]                 // 0000000077D0: D1000025 00F24B7F
	v_cndmask_b32_e64 v38, v127, v38, s[60:61]                 // 0000000077D8: D1000026 00F24D7F
	v_cndmask_b32_e64 v39, v127, v39, s[60:61]                 // 0000000077E0: D1000027 00F24F7F
	s_branch label_0E22                                        // 0000000077E8: BF820013

00000000000077ec <label_0E0F>:
	s_mov_b32 s60, 64                                          // 0000000077EC: BEBC00C0
	v_and_b32_e32 v32, 15, v0                                  // 0000000077F0: 2640008F
	v_add_u32_e64 v32, v32, s60                                // 0000000077F4: D1340020 00007920
	v_mul_i32_i24_e64 v33, s46, 16                             // 0000000077FC: D1060021 0001202E
	v_add_u32_e32 v32, v32, v33                                // 000000007804: 68404320
	v_cmp_lt_u32_e64 s[60:61], v32, s98                        // 000000007808: D0C9003C 0000C520
	s_nop 1                                                    // 000000007810: BF800001
	v_cndmask_b32_e64 v40, v127, v40, s[60:61]                 // 000000007814: D1000028 00F2517F
	v_cndmask_b32_e64 v41, v127, v41, s[60:61]                 // 00000000781C: D1000029 00F2537F
	v_cndmask_b32_e64 v42, v127, v42, s[60:61]                 // 000000007824: D100002A 00F2557F
	v_cndmask_b32_e64 v43, v127, v43, s[60:61]                 // 00000000782C: D100002B 00F2577F
	s_branch label_0E3B                                        // 000000007834: BF820019

0000000000007838 <label_0E22>:
	v_mov_b32_e32 v40, v127                                    // 000000007838: 7E50037F
	v_mov_b32_e32 v41, v127                                    // 00000000783C: 7E52037F
	v_mov_b32_e32 v42, v127                                    // 000000007840: 7E54037F
	v_mov_b32_e32 v43, v127                                    // 000000007844: 7E56037F
	s_branch label_0E3B                                        // 000000007848: BF820014

000000000000784c <label_0E27>:
	s_mov_b32 s60, 0x80                                        // 00000000784C: BEBC00FF 00000080
	v_and_b32_e32 v32, 15, v0                                  // 000000007854: 2640008F
	v_add_u32_e64 v32, v32, s60                                // 000000007858: D1340020 00007920
	v_mul_i32_i24_e64 v33, s46, 16                             // 000000007860: D1060021 0001202E
	v_add_u32_e32 v32, v32, v33                                // 000000007868: 68404320
	v_cmp_lt_u32_e64 s[60:61], v32, s98                        // 00000000786C: D0C9003C 0000C520
	s_nop 1                                                    // 000000007874: BF800001
	v_cndmask_b32_e64 v44, v127, v44, s[60:61]                 // 000000007878: D100002C 00F2597F
	v_cndmask_b32_e64 v45, v127, v45, s[60:61]                 // 000000007880: D100002D 00F25B7F
	v_cndmask_b32_e64 v46, v127, v46, s[60:61]                 // 000000007888: D100002E 00F25D7F
	v_cndmask_b32_e64 v47, v127, v47, s[60:61]                 // 000000007890: D100002F 00F25F7F
	s_branch label_0E40                                        // 000000007898: BF820005

000000000000789c <label_0E3B>:
	v_mov_b32_e32 v44, v127                                    // 00000000789C: 7E58037F
	v_mov_b32_e32 v45, v127                                    // 0000000078A0: 7E5A037F
	v_mov_b32_e32 v46, v127                                    // 0000000078A4: 7E5C037F
	v_mov_b32_e32 v47, v127                                    // 0000000078A8: 7E5E037F
	s_branch label_0E40                                        // 0000000078AC: BF820000

00000000000078b0 <label_0E40>:
	s_waitcnt lgkmcnt(8)                                       // 0000000078B0: BF8CC87F
	v_mfma_f32_16x16x32_f16 v[60:63], v[72:75], a[64:67], 0    // 0000000078B4: D3D4003C 12028148
	v_exp_f32_e32 v36, v36                                     // 0000000078BC: 7E484124
	v_exp_f32_e32 v37, v37                                     // 0000000078C0: 7E4A4125
	v_mfma_f32_16x16x32_f16 v[60:63], v[76:79], a[68:71], v[60:63]// 0000000078C4: D3D4003C 14F2894C
	v_exp_f32_e32 v38, v38                                     // 0000000078CC: 7E4C4126
	v_exp_f32_e32 v39, v39                                     // 0000000078D0: 7E4E4127
	v_mfma_f32_16x16x32_f16 v[60:63], v[80:83], a[72:75], v[60:63]// 0000000078D4: D3D4003C 14F29150
	v_fma_f32 v44, v44, s57, -v104                             // 0000000078DC: D1CB002C 85A0732C
	v_fma_f32 v45, v45, s57, -v105                             // 0000000078E4: D1CB002D 85A4732D
	v_exp_f32_e32 v40, v40                                     // 0000000078EC: 7E504128
	v_exp_f32_e32 v41, v41                                     // 0000000078F0: 7E524129
	buffer_atomic_add_f32 v110, v9, s[32:35], 0 offen          // 0000000078F4: E1341000 80086E09
	v_mfma_f32_16x16x32_f16 v[60:63], v[84:87], a[76:79], v[60:63]// 0000000078FC: D3D4003C 14F29954
	ds_read_b64_tr_b16 v[224:225], v13                         // 000000007904: D9C60000 E000000D
	ds_read_b64_tr_b16 v[226:227], v13 offset:256              // 00000000790C: D9C60100 E200000D
	ds_read_b64_tr_b16 v[228:229], v13 offset:1024             // 000000007914: D9C60400 E400000D
	ds_read_b64_tr_b16 v[230:231], v13 offset:1280             // 00000000791C: D9C60500 E600000D
	v_mfma_f32_16x16x32_f16 v[64:67], v[72:75], a[80:83], 0    // 000000007924: D3D40040 1202A148
	v_fma_f32 v46, v46, s57, -v106                             // 00000000792C: D1CB002E 85A8732E
	v_fma_f32 v47, v47, s57, -v107                             // 000000007934: D1CB002F 85AC732F
	v_exp_f32_e32 v42, v42                                     // 00000000793C: 7E54412A
	v_exp_f32_e32 v43, v43                                     // 000000007940: 7E56412B
	v_mfma_f32_16x16x32_f16 v[64:67], v[76:79], a[84:87], v[64:67]// 000000007944: D3D40040 1502A94C
	ds_read_b64_tr_b16 v[232:233], v13 offset:2048             // 00000000794C: D9C60800 E800000D
	ds_read_b64_tr_b16 v[234:235], v13 offset:2304             // 000000007954: D9C60900 EA00000D
	ds_read_b64_tr_b16 v[236:237], v13 offset:3072             // 00000000795C: D9C60C00 EC00000D
	ds_read_b64_tr_b16 v[238:239], v13 offset:3328             // 000000007964: D9C60D00 EE00000D
	v_mfma_f32_16x16x32_f16 v[64:67], v[80:83], a[88:91], v[64:67]// 00000000796C: D3D40040 1502B150
	v_exp_f32_e32 v44, v44                                     // 000000007974: 7E58412C
	v_exp_f32_e32 v45, v45                                     // 000000007978: 7E5A412D
	v_mfma_f32_16x16x32_f16 v[64:67], v[84:87], a[92:95], v[64:67]// 00000000797C: D3D40040 1502B954
	v_cvt_pk_f16_f32 v120, v36, v37                            // 000000007984: D2670078 00024B24
	v_cvt_pk_f16_f32 v121, v38, v39                            // 00000000798C: D2670079 00024F26
	v_cvt_pk_f16_f32 v122, v40, v41                            // 000000007994: D267007A 00025328
	v_cvt_pk_f16_f32 v123, v42, v43                            // 00000000799C: D267007B 0002572A
	v_mfma_f32_16x16x32_f16 v[68:71], v[72:75], a[96:99], 0    // 0000000079A4: D3D40044 1202C148
	v_exp_f32_e32 v46, v46                                     // 0000000079AC: 7E5C412E
	v_exp_f32_e32 v47, v47                                     // 0000000079B0: 7E5E412F
	v_mfma_f32_16x16x32_f16 v[68:71], v[76:79], a[100:103], v[68:71]// 0000000079B4: D3D40044 1512C94C
	v_permlane16_swap_b32_e32 v120, v122                       // 0000000079BC: 7EF0B37A
	v_permlane16_swap_b32_e32 v121, v123                       // 0000000079C0: 7EF2B37B
	v_mfma_f32_16x16x32_f16 v[68:71], v[80:83], a[104:107], v[68:71]// 0000000079C4: D3D40044 1512D150
	v_cvt_pk_f16_f32 v124, v44, v45                            // 0000000079CC: D267007C 00025B2C
	v_cvt_pk_f16_f32 v125, v46, v47                            // 0000000079D4: D267007D 00025F2E
	buffer_atomic_add_f32 v111, v10, s[32:35], 0 offen         // 0000000079DC: E1341000 80086F0A
	v_mfma_f32_16x16x32_f16 v[68:71], v[84:87], a[108:111], v[68:71]// 0000000079E4: D3D40044 1512D954
	ds_read_b64_tr_b16 v[240:241], v13 offset:4096             // 0000000079EC: D9C61000 F000000D
	ds_read_b64_tr_b16 v[242:243], v13 offset:4352             // 0000000079F4: D9C61100 F200000D
	ds_read_b64_tr_b16 v[244:245], v13 offset:5120             // 0000000079FC: D9C61400 F400000D
	ds_read_b64_tr_b16 v[246:247], v13 offset:5376             // 000000007A04: D9C61500 F600000D
	s_waitcnt lgkmcnt(12)                                      // 000000007A0C: BF8CCC7F
	v_mfma_f32_32x32x16_f16 v[128:143], v[88:91], v[120:123], v[128:143]// 000000007A10: D3D50080 0602F158
	v_subrev_f32_dpp v60, v126, v60 quad_perm:[0,0,0,0] row_mask:0xf bank_mask:0xf// 000000007A18: 067878FA FF00007E
	v_subrev_f32_dpp v61, v126, v61 quad_perm:[1,1,1,1] row_mask:0xf bank_mask:0xf// 000000007A20: 067A7AFA FF00557E
	v_subrev_f32_dpp v62, v126, v62 quad_perm:[2,2,2,2] row_mask:0xf bank_mask:0xf// 000000007A28: 067C7CFA FF00AA7E
	v_subrev_f32_dpp v63, v126, v63 quad_perm:[3,3,3,3] row_mask:0xf bank_mask:0xf// 000000007A30: 067E7EFA FF00FF7E
	v_subrev_f32_dpp v64, v126, v64 quad_perm:[0,0,0,0] row_mask:0xf bank_mask:0xf// 000000007A38: 068080FA FF00007E
	v_subrev_f32_dpp v65, v126, v65 quad_perm:[1,1,1,1] row_mask:0xf bank_mask:0xf// 000000007A40: 068282FA FF00557E
	v_subrev_f32_dpp v66, v126, v66 quad_perm:[2,2,2,2] row_mask:0xf bank_mask:0xf// 000000007A48: 068484FA FF00AA7E
	v_subrev_f32_dpp v67, v126, v67 quad_perm:[3,3,3,3] row_mask:0xf bank_mask:0xf// 000000007A50: 068686FA FF00FF7E
	v_mul_f32_e32 v60, v36, v60                                // 000000007A58: 0A787924
	v_mul_f32_e32 v61, v37, v61                                // 000000007A5C: 0A7A7B25
	v_mul_f32_e32 v62, v38, v62                                // 000000007A60: 0A7C7D26
	v_mul_f32_e32 v63, v39, v63                                // 000000007A64: 0A7E7F27
	v_mfma_f32_32x32x16_f16 v[144:159], v[92:95], v[120:123], v[144:159]// 000000007A68: D3D50090 0642F15C
	ds_read_b64_tr_b16 a[0:1], v19                             // 000000007A70: DBC60000 00000013
	ds_read_b64_tr_b16 a[2:3], v19 offset:256                  // 000000007A78: DBC60100 02000013
	ds_read_b64_tr_b16 a[4:5], v19 offset:12288                // 000000007A80: DBC63000 04000013
	ds_read_b64_tr_b16 a[6:7], v19 offset:12544                // 000000007A88: DBC63100 06000013
	ds_read_b64_tr_b16 a[8:9], v19 offset:24576                // 000000007A90: DBC66000 08000013
	buffer_atomic_add_f32 v112, v7, s[32:35], 0 offen offset:64// 000000007A98: E1341040 80087007
	v_mfma_f32_32x32x16_f16 v[160:175], v[96:99], v[120:123], v[160:175]// 000000007AA0: D3D500A0 0682F160
	v_mul_f32_e32 v64, v40, v64                                // 000000007AA8: 0A808128
	v_mul_f32_e32 v65, v41, v65                                // 000000007AAC: 0A828329
	v_mul_f32_e32 v66, v42, v66                                // 000000007AB0: 0A84852A
	v_mul_f32_e32 v67, v43, v67                                // 000000007AB4: 0A86872B
	v_permlane16_swap_b32_e32 v88, v90                         // 000000007AB8: 7EB0B35A
	v_permlane16_swap_b32_e32 v89, v91                         // 000000007ABC: 7EB2B35B
	v_cvt_pk_f16_f32 v60, v60, v61                             // 000000007AC0: D267003C 00027B3C
	v_cvt_pk_f16_f32 v61, v62, v63                             // 000000007AC8: D267003D 00027F3E
	v_cvt_pk_f16_f32 v62, v64, v65                             // 000000007AD0: D267003E 00028340
	v_cvt_pk_f16_f32 v63, v66, v67                             // 000000007AD8: D267003F 00028742
	v_permlane16_swap_b32_e32 v92, v94                         // 000000007AE0: 7EB8B35E
	v_permlane16_swap_b32_e32 v93, v95                         // 000000007AE4: 7EBAB35F
	v_mfma_f32_32x32x16_f16 v[176:191], v[100:103], v[120:123], v[176:191]// 000000007AE8: D3D500B0 06C2F164
	ds_read_b64_tr_b16 a[10:11], v19 offset:24832              // 000000007AF0: DBC66100 0A000013
	ds_read_b64_tr_b16 a[12:13], v19 offset:36864              // 000000007AF8: DBC69000 0C000013
	ds_read_b64_tr_b16 a[14:15], v19 offset:37120              // 000000007B00: DBC69100 0E000013
	ds_read_b64_tr_b16 a[16:17], v19 offset:49152              // 000000007B08: DBC6C000 10000013
	ds_read_b64_tr_b16 a[18:19], v19 offset:49408              // 000000007B10: DBC6C100 12000013
	ds_read_b32 v104, v16 offset:38144                         // 000000007B18: D86C9500 68000010
	v_mfma_f32_16x16x16_f16 v[192:195], v[88:89], v[124:125], v[192:195]// 000000007B20: D3CD00C0 0702F958
	v_permlane16_swap_b32_e32 v96, v98                         // 000000007B28: 7EC0B362
	v_permlane16_swap_b32_e32 v97, v99                         // 000000007B2C: 7EC2B363
	v_subrev_f32_dpp v68, v126, v68 quad_perm:[0,0,0,0] row_mask:0xf bank_mask:0xf// 000000007B30: 068888FA FF00007E
	v_subrev_f32_dpp v69, v126, v69 quad_perm:[1,1,1,1] row_mask:0xf bank_mask:0xf// 000000007B38: 068A8AFA FF00557E
	v_mfma_f32_16x16x16_f16 v[196:199], v[90:91], v[124:125], v[196:199]// 000000007B40: D3CD00C4 0712F95A
	buffer_atomic_add_f32 v113, v8, s[32:35], 0 offen offset:64// 000000007B48: E1341040 80087108
	ds_write_b64 v15, v[60:61] offset:30720                    // 000000007B50: D89A7800 00003C0F
	ds_write_b64 v15, v[62:63] offset:33024                    // 000000007B58: D89A8100 00003E0F
	v_mfma_f32_16x16x16_f16 v[200:203], v[92:93], v[124:125], v[200:203]// 000000007B60: D3CD00C8 0722F95C
	v_permlane16_swap_b32_e32 v100, v102                       // 000000007B68: 7EC8B366
	v_permlane16_swap_b32_e32 v101, v103                       // 000000007B6C: 7ECAB367
	v_subrev_f32_dpp v70, v126, v70 quad_perm:[2,2,2,2] row_mask:0xf bank_mask:0xf// 000000007B70: 068C8CFA FF00AA7E
	v_subrev_f32_dpp v71, v126, v71 quad_perm:[3,3,3,3] row_mask:0xf bank_mask:0xf// 000000007B78: 068E8EFA FF00FF7E
	v_mfma_f32_16x16x16_f16 v[204:207], v[94:95], v[124:125], v[204:207]// 000000007B80: D3CD00CC 0732F95E
	v_permlane16_swap_b32_e32 v60, v62                         // 000000007B88: 7E78B33E
	v_permlane16_swap_b32_e32 v61, v63                         // 000000007B8C: 7E7AB33F
	v_mfma_f32_16x16x16_f16 v[208:211], v[96:97], v[124:125], v[208:211]// 000000007B90: D3CD00D0 0742F960
	v_mul_f32_e32 v68, v44, v68                                // 000000007B98: 0A88892C
	v_mul_f32_e32 v69, v45, v69                                // 000000007B9C: 0A8A8B2D
	v_mul_f32_e32 v70, v46, v70                                // 000000007BA0: 0A8C8D2E
	v_mfma_f32_16x16x16_f16 v[212:215], v[98:99], v[124:125], v[212:215]// 000000007BA4: D3CD00D4 0752F962
	ds_read_b64_tr_b16 a[20:21], v19 offset:61440              // 000000007BAC: DBC6F000 14000013
	ds_read_b64_tr_b16 a[22:23], v19 offset:61696              // 000000007BB4: DBC6F100 16000013
	ds_read_b64_tr_b16 a[24:25], v20                           // 000000007BBC: DBC60000 18000014
	v_mfma_f32_16x16x16_f16 v[216:219], v[100:101], v[124:125], v[216:219]// 000000007BC4: D3CD00D8 0762F964
	v_mul_f32_e32 v71, v47, v71                                // 000000007BCC: 0A8E8F2F
	v_cvt_pk_f16_f32 v64, v68, v69                             // 000000007BD0: D2670040 00028B44
	v_cvt_pk_f16_f32 v65, v70, v71                             // 000000007BD8: D2670041 00028F46
	v_mfma_f32_16x16x16_f16 v[220:223], v[102:103], v[124:125], v[220:223]// 000000007BE0: D3CD00DC 0772F966
	ds_read_b32 v126, v16 offset:38400                         // 000000007BE8: D86C9600 7E000010
	ds_read_b64_tr_b16 a[26:27], v20 offset:256                // 000000007BF0: DBC60100 1A000014
	ds_read_b64_tr_b16 a[28:29], v20 offset:12288              // 000000007BF8: DBC63000 1C000014
	s_waitcnt lgkmcnt(8)                                       // 000000007C00: BF8CC87F
	v_mfma_f32_32x32x16_f16 a[112:127], v[224:227], v[60:63], a[112:127]// 000000007C04: D3D58070 05C279E0
	v_mul_f32_e32 v104, s48, v104                              // 000000007C0C: 0AD0D030
	buffer_atomic_add_f32 v114, v9, s[32:35], 0 offen offset:64// 000000007C10: E1341040 80087209
	v_mfma_f32_32x32x16_f16 a[128:143], v[228:231], v[60:63], a[128:143]// 000000007C18: D3D58080 060279E4
	ds_read_b64_tr_b16 a[30:31], v20 offset:12544              // 000000007C20: DBC63100 1E000014
	ds_write_b64 v15, v[64:65] offset:35328                    // 000000007C28: D89A8A00 0000400F
	ds_read_b64_tr_b16 a[32:33], v20 offset:24576              // 000000007C30: DBC66000 20000014
	ds_read_b64_tr_b16 a[34:35], v20 offset:24832              // 000000007C38: DBC66100 22000014
	v_mfma_f32_32x32x16_f16 a[144:159], v[232:235], v[60:63], a[144:159]// 000000007C40: D3D58090 064279E8
	.long 0x7fc0b3e2                                           // 000000007C48: 7FC0B3E2
	.long 0x7fc2b3e3                                           // 000000007C4C: 7FC2B3E3
	buffer_atomic_add_f32 v115, v10, s[32:35], 0 offen offset:64// 000000007C50: E1341040 8008730A
	v_mfma_f32_32x32x16_f16 a[160:175], v[236:239], v[60:63], a[160:175]// 000000007C58: D3D580A0 068279EC
	ds_read_b64_tr_b16 a[36:37], v20 offset:36864              // 000000007C60: DBC69000 24000014
	ds_read_b64_tr_b16 a[38:39], v20 offset:37120              // 000000007C68: DBC69100 26000014
	ds_read_b64_tr_b16 a[40:41], v20 offset:49152              // 000000007C70: DBC6C000 28000014
	ds_read_b64_tr_b16 a[42:43], v20 offset:49408              // 000000007C78: DBC6C100 2A000014
	ds_read_b64_tr_b16 a[44:45], v20 offset:61440              // 000000007C80: DBC6F000 2C000014
	ds_read_b64_tr_b16 a[46:47], v20 offset:61696              // 000000007C88: DBC6F100 2E000014
	s_waitcnt lgkmcnt(8)                                       // 000000007C90: BF8CC87F
	s_barrier                                                  // 000000007C94: BF8A0000
	v_mfma_f32_32x32x16_f16 a[176:191], v[240:243], v[60:63], a[176:191]// 000000007C98: D3D580B0 06C279F0
	.long 0x7fc8b3e6                                           // 000000007CA0: 7FC8B3E6
	.long 0x7fcab3e7                                           // 000000007CA4: 7FCAB3E7
	v_mov_b32_dpp v107, v104 quad_perm:[3,3,3,3] row_mask:0xf bank_mask:0xf// 000000007CA8: 7ED602FA FF00FF68
	v_mov_b32_dpp v106, v104 quad_perm:[2,2,2,2] row_mask:0xf bank_mask:0xf// 000000007CB0: 7ED402FA FF00AA68
	buffer_atomic_add_f32 v116, v7, s[32:35], 0 offen offset:128// 000000007CB8: E1341080 80087407
	v_mfma_f32_32x32x16_f16 a[192:207], v[244:247], v[60:63], a[192:207]// 000000007CC0: D3D580C0 070279F4
	ds_read_b64_tr_b16 v[36:37], v14 offset:30720              // 000000007CC8: D9C67800 2400000E
	ds_read_b64_tr_b16 v[38:39], v14 offset:30752              // 000000007CD0: D9C67820 2600000E
	ds_read_b64_tr_b16 v[40:41], v14 offset:31872              // 000000007CD8: D9C67C80 2800000E
	ds_read_b64_tr_b16 v[42:43], v14 offset:31904              // 000000007CE0: D9C67CA0 2A00000E
	ds_read_b64_tr_b16 v[44:45], v14 offset:33024              // 000000007CE8: D9C68100 2C00000E
	ds_read_b64_tr_b16 v[46:47], v14 offset:33056              // 000000007CF0: D9C68120 2E00000E
	v_mfma_f32_16x16x16_f16 a[208:211], v[224:225], v[64:65], a[208:211]// 000000007CF8: D3CD80D0 074281E0
	.long 0x7fd0b3ea                                           // 000000007D00: 7FD0B3EA
	.long 0x7fd2b3eb                                           // 000000007D04: 7FD2B3EB
	v_mfma_f32_16x16x16_f16 a[212:215], v[226:227], v[64:65], a[212:215]// 000000007D08: D3CD80D4 075281E2
	ds_read_b64_tr_b16 v[48:49], v14 offset:34176              // 000000007D10: D9C68580 3000000E
	ds_read_b64_tr_b16 v[50:51], v14 offset:34208              // 000000007D18: D9C685A0 3200000E
	ds_read_b64_tr_b16 v[52:53], v14 offset:35328              // 000000007D20: D9C68A00 3400000E
	v_mfma_f32_16x16x16_f16 a[216:219], v[228:229], v[64:65], a[216:219]// 000000007D28: D3CD80D8 076281E4
	v_permlane16_swap_b32_e32 v236, v238                       // 000000007D30: 7FD8B3EE
	v_permlane16_swap_b32_e32 v237, v239                       // 000000007D34: 7FDAB3EF
	buffer_atomic_add_f32 v117, v8, s[32:35], 0 offen offset:128// 000000007D38: E1341080 80087508
	v_mfma_f32_16x16x16_f16 a[220:223], v[230:231], v[64:65], a[220:223]// 000000007D40: D3CD80DC 077281E6
	ds_read_b64_tr_b16 v[54:55], v14 offset:35360              // 000000007D48: D9C68A20 3600000E
	ds_read_b64_tr_b16 v[56:57], v14 offset:36480              // 000000007D50: D9C68E80 3800000E
	ds_read_b64_tr_b16 v[58:59], v14 offset:36512              // 000000007D58: D9C68EA0 3A00000E
	v_mfma_f32_16x16x16_f16 a[224:227], v[232:233], v[64:65], a[224:227]// 000000007D60: D3CD80E0 078281E8
	v_permlane16_swap_b32_e32 v240, v242                       // 000000007D68: 7FE0B3F2
	v_permlane16_swap_b32_e32 v241, v243                       // 000000007D6C: 7FE2B3F3
	v_mfma_f32_16x16x16_f16 a[228:231], v[234:235], v[64:65], a[228:231]// 000000007D70: D3CD80E4 079281EA
	ds_read_b64_tr_b16 a[48:49], v21                           // 000000007D78: DBC60000 30000015
	ds_read_b64_tr_b16 a[50:51], v21 offset:256                // 000000007D80: DBC60100 32000015
	ds_read_b64_tr_b16 a[52:53], v21 offset:12288              // 000000007D88: DBC63000 34000015
	v_mfma_f32_16x16x16_f16 a[232:235], v[236:237], v[64:65], a[232:235]// 000000007D90: D3CD80E8 07A281EC
	v_permlane16_swap_b32_e32 v244, v246                       // 000000007D98: 7FE8B3F6
	v_permlane16_swap_b32_e32 v245, v247                       // 000000007D9C: 7FEAB3F7
	v_mfma_f32_16x16x16_f16 a[236:239], v[238:239], v[64:65], a[236:239]// 000000007DA0: D3CD80EC 07B281EE
	ds_read_b64_tr_b16 a[54:55], v21 offset:12544              // 000000007DA8: DBC63100 36000015
	ds_read_b64_tr_b16 a[56:57], v21 offset:24576              // 000000007DB0: DBC66000 38000015
	ds_read_b64_tr_b16 a[58:59], v21 offset:24832              // 000000007DB8: DBC66100 3A000015
	v_mfma_f32_16x16x16_f16 a[240:243], v[240:241], v[64:65], a[240:243]// 000000007DC0: D3CD80F0 07C281F0
	v_mov_b32_dpp v105, v104 quad_perm:[1,1,1,1] row_mask:0xf bank_mask:0xf// 000000007DC8: 7ED202FA FF005568
	buffer_atomic_add_f32 v118, v9, s[32:35], 0 offen offset:128// 000000007DD0: E1341080 80087609
	v_mfma_f32_16x16x16_f16 a[244:247], v[242:243], v[64:65], a[244:247]// 000000007DD8: D3CD80F4 07D281F2
	ds_read_b64_tr_b16 a[60:61], v21 offset:36864              // 000000007DE0: DBC69000 3C000015
	ds_read_b64_tr_b16 a[62:63], v21 offset:37120              // 000000007DE8: DBC69100 3E000015
	ds_read_b64_tr_b16 v[248:249], v21 offset:49152            // 000000007DF0: D9C6C000 F8000015
	v_mfma_f32_16x16x16_f16 a[248:251], v[244:245], v[64:65], a[248:251]// 000000007DF8: D3CD80F8 07E281F4
	v_mov_b32_dpp v104, v104 quad_perm:[0,0,0,0] row_mask:0xf bank_mask:0xf// 000000007E00: 7ED002FA FF000068
	buffer_atomic_add_f32 v119, v10, s[32:35], 0 offen offset:128// 000000007E08: E1341080 8008770A
	v_mfma_f32_16x16x16_f16 a[252:255], v[246:247], v[64:65], a[252:255]// 000000007E10: D3CD80FC 07F281F6
	ds_read_b64_tr_b16 v[250:251], v21 offset:49408            // 000000007E18: D9C6C100 FA000015
	ds_read_b64_tr_b16 v[252:253], v21 offset:61440            // 000000007E20: D9C6F000 FC000015
	ds_read_b64_tr_b16 v[254:255], v21 offset:61696            // 000000007E28: D9C6F100 FE000015
	s_waitcnt vmcnt(12) lgkmcnt(6)                             // 000000007E30: BF8C067C
	s_barrier                                                  // 000000007E34: BF8A0000
	v_mfma_f32_16x16x32_f16 v[108:111], v[36:39], a[0:3], 0    // 000000007E38: D3D4006C 12020124
	s_mov_b32 m0, s77                                          // 000000007E40: BEFC004D
	buffer_load_dwordx4 v1, s[8:11], 0 idxen lds               // 000000007E44: E05D2000 80020001
	v_mfma_f32_16x16x32_f16 v[108:111], v[40:43], a[4:7], v[108:111]// 000000007E4C: D3D4006C 15B20928
	ds_read_b128 v[224:227], v12 offset:6144                   // 000000007E54: D9FE1800 E000000C
	ds_read_b128 v[228:231], v12 offset:7168                   // 000000007E5C: D9FE1C00 E400000C
	v_mfma_f32_16x16x32_f16 v[108:111], v[44:47], a[8:11], v[108:111]// 000000007E64: D3D4006C 15B2112C
	s_mov_b32 m0, s78                                          // 000000007E6C: BEFC004E
	buffer_load_dword v2, s[8:11], 0 idxen lds                 // 000000007E70: E0512000 80020002
	v_mfma_f32_16x16x32_f16 v[108:111], v[48:51], a[12:15], v[108:111]// 000000007E78: D3D4006C 15B21930
	ds_read_b128 v[232:235], v12 offset:8192                   // 000000007E80: D9FE2000 E800000C
	ds_read_b128 v[236:239], v12 offset:9216                   // 000000007E88: D9FE2400 EC00000C
	v_mfma_f32_16x16x32_f16 v[108:111], v[52:55], a[16:19], v[108:111]// 000000007E90: D3D4006C 15B22134
	s_mov_b32 m0, s79                                          // 000000007E98: BEFC004F
	buffer_load_dword v3, s[8:11], 0 idxen lds                 // 000000007E9C: E0512000 80020003
	v_mfma_f32_16x16x32_f16 v[108:111], v[56:59], a[20:23], v[108:111]// 000000007EA4: D3D4006C 15B22938
	ds_read_b128 v[240:243], v12 offset:10240                  // 000000007EAC: D9FE2800 F000000C
	ds_read_b128 v[244:247], v12 offset:11264                  // 000000007EB4: D9FE2C00 F400000C
	v_mfma_f32_16x16x32_f16 v[112:115], v[36:39], a[24:27], 0  // 000000007EBC: D3D40070 12023124
	s_mov_b32 m0, s86                                          // 000000007EC4: BEFC0056
	buffer_load_dwordx4 v4, s[20:23], 0 idxen lds              // 000000007EC8: E05D2000 80050004
	v_mfma_f32_16x16x32_f16 v[112:115], v[40:43], a[28:31], v[112:115]// 000000007ED0: D3D40070 15C23928
	ds_read_b128 a[0:3], v17                                   // 000000007ED8: DBFE0000 00000011
	ds_read_b128 a[4:7], v17 offset:1024                       // 000000007EE0: DBFE0400 04000011
	v_mfma_f32_16x16x32_f16 v[112:115], v[44:47], a[32:35], v[112:115]// 000000007EE8: D3D40070 15C2412C
	v_mul_f32_e32 v108, s47, v108                              // 000000007EF0: 0AD8D82F
	v_mul_f32_e32 v109, s47, v109                              // 000000007EF4: 0ADADA2F
	s_mov_b32 m0, s74                                          // 000000007EF8: BEFC004A
	buffer_load_dword v11, s[24:27], 0 idxen lds               // 000000007EFC: E0512000 8006000B
	v_mfma_f32_16x16x32_f16 v[112:115], v[48:51], a[36:39], v[112:115]// 000000007F04: D3D40070 15C24930
	ds_read_b128 a[8:11], v17 offset:2048                      // 000000007F0C: DBFE0800 08000011
	ds_read_b128 a[12:15], v17 offset:3072                     // 000000007F14: DBFE0C00 0C000011
	v_mfma_f32_16x16x32_f16 v[112:115], v[52:55], a[40:43], v[112:115]// 000000007F1C: D3D40070 15C25134
	s_add_u32 s60, 64, s59                                     // 000000007F24: 803C3BC0
	s_cmp_lt_u32 s60, s58                                      // 000000007F28: BF0A3A3C
	s_cselect_b32 s68, s68, 0                                  // 000000007F2C: 85448044
	s_cselect_b32 s97, s97, 0                                  // 000000007F30: 85618061
	s_cselect_b32 s69, s69, 0                                  // 000000007F34: 85458045
	v_mfma_f32_16x16x32_f16 v[112:115], v[56:59], a[44:47], v[112:115]// 000000007F38: D3D40070 15C25938
	ds_read_b128 a[16:19], v17 offset:4096                     // 000000007F40: DBFE1000 10000011
	ds_read_b128 a[20:23], v17 offset:5120                     // 000000007F48: DBFE1400 14000011
	v_mfma_f32_16x16x32_f16 v[116:119], v[36:39], a[48:51], 0  // 000000007F50: D3D40074 12026124
	v_add_u32_e32 v1, s68, v1                                  // 000000007F58: 68020244
	v_add_u32_e32 v2, s68, v2                                  // 000000007F5C: 68040444
	v_add_u32_e32 v3, s68, v3                                  // 000000007F60: 68060644
	v_add_u32_e32 v4, s97, v4                                  // 000000007F64: 68080861
	v_add_u32_e32 v11, s69, v11                                // 000000007F68: 68161645
	v_mfma_f32_16x16x32_f16 v[116:119], v[40:43], a[52:55], v[116:119]// 000000007F6C: D3D40074 15D26928
	ds_read_b128 a[24:27], v17 offset:24576                    // 000000007F74: DBFE6000 18000011
	ds_read_b128 a[28:31], v17 offset:25600                    // 000000007F7C: DBFE6400 1C000011
	s_waitcnt lgkmcnt(14)                                      // 000000007F84: BF8CCE7F
	v_mfma_f32_16x16x32_f16 v[116:119], v[44:47], a[56:59], v[116:119]// 000000007F88: D3D40074 15D2712C
	v_mul_f32_e32 v110, s47, v110                              // 000000007F90: 0ADCDC2F
	v_mul_f32_e32 v111, s47, v111                              // 000000007F94: 0ADEDE2F
	s_cmp_ge_u32 s59, 16                                       // 000000007F98: BF09903B
	s_cselect_b32 s66, s67, s66                                // 000000007F9C: 85424243
	v_mfma_f32_16x16x32_f16 v[116:119], v[48:51], a[60:63], v[116:119]// 000000007FA0: D3D40074 15D27930
	ds_read_b128 a[32:35], v17 offset:26624                    // 000000007FA8: DBFE6800 20000011
	ds_read_b128 a[36:39], v17 offset:27648                    // 000000007FB0: DBFE6C00 24000011
	v_mfma_f32_16x16x32_f16 v[116:119], v[52:55], v[248:251], v[116:119]// 000000007FB8: D3D40074 05D3F134
	s_addk_i32 s59, 0x10                                       // 000000007FC0: B73B0010
	v_mul_f32_e32 v112, s47, v112                              // 000000007FC4: 0AE0E02F
	v_mul_f32_e32 v113, s47, v113                              // 000000007FC8: 0AE2E22F
	s_cmp_lt_i32 s59, s58                                      // 000000007FCC: BF043A3B
	v_mfma_f32_16x16x32_f16 v[116:119], v[56:59], v[252:255], v[116:119]// 000000007FD0: D3D40074 05D3F938
	ds_read_b128 a[40:43], v17 offset:28672                    // 000000007FD8: DBFE7000 28000011
	ds_read_b128 a[44:47], v17 offset:29696                    // 000000007FE0: DBFE7400 2C000011
	s_cbranch_scc0 label_0D7D                                  // 000000007FE8: BF84FD73
	s_waitcnt lgkmcnt(2)                                       // 000000007FEC: BF8CC27F
	v_mfma_f32_16x16x32_f16 v[36:39], v[224:227], a[0:3], 0    // 000000007FF0: D3D40024 120201E0
	v_add_u32_e32 v7, s66, v7                                  // 000000007FF8: 680E0E42
	v_add_u32_e32 v8, s66, v8                                  // 000000007FFC: 68101042
	v_mfma_f32_16x16x32_f16 v[36:39], v[228:231], a[4:7], v[36:39]// 000000008000: D3D40024 149209E4
	ds_read_b128 a[48:51], v17 offset:49152                    // 000000008008: DBFEC000 30000011
	ds_read_b128 a[52:55], v17 offset:50176                    // 000000008010: DBFEC400 34000011
	v_mfma_f32_16x16x32_f16 v[36:39], v[232:235], a[8:11], v[36:39]// 000000008018: D3D40024 149211E8
	v_add_u32_e32 v9, s66, v9                                  // 000000008020: 68121242
	v_add_u32_e32 v10, s66, v10                                // 000000008024: 68141442
	v_mfma_f32_16x16x32_f16 v[36:39], v[236:239], a[12:15], v[36:39]// 000000008028: D3D40024 149219EC
	ds_read_b128 a[56:59], v17 offset:51200                    // 000000008030: DBFEC800 38000011
	ds_read_b128 a[60:63], v17 offset:52224                    // 000000008038: DBFECC00 3C000011
	v_mfma_f32_16x16x32_f16 v[36:39], v[240:243], a[16:19], v[36:39]// 000000008040: D3D40024 149221F0
	v_mul_f32_e32 v114, s47, v114                              // 000000008048: 0AE4E42F
	v_mul_f32_e32 v115, s47, v115                              // 00000000804C: 0AE6E62F
	v_mfma_f32_16x16x32_f16 v[36:39], v[244:247], a[20:23], v[36:39]// 000000008050: D3D40024 149229F4
	ds_read_b128 v[248:251], v17 offset:53248                  // 000000008058: D9FED000 F8000011
	ds_read_b128 v[252:255], v17 offset:54272                  // 000000008060: D9FED400 FC000011
	v_mfma_f32_16x16x32_f16 v[40:43], v[224:227], a[24:27], 0  // 000000008068: D3D40028 120231E0
	v_mul_f32_e32 v116, s47, v116                              // 000000008070: 0AE8E82F
	v_mul_f32_e32 v117, s47, v117                              // 000000008074: 0AEAEA2F
	v_mfma_f32_16x16x32_f16 v[40:43], v[228:231], a[28:31], v[40:43]// 000000008078: D3D40028 14A239E4
	ds_read_b128 v[72:75], v12 offset:22528                    // 000000008080: D9FE5800 4800000C
	ds_read_b128 v[76:79], v12 offset:23552                    // 000000008088: D9FE5C00 4C00000C
	v_mfma_f32_16x16x32_f16 v[40:43], v[232:235], a[32:35], v[40:43]// 000000008090: D3D40028 14A241E8
	v_mul_f32_e32 v118, s47, v118                              // 000000008098: 0AECEC2F
	v_mul_f32_e32 v119, s47, v119                              // 00000000809C: 0AEEEE2F
	buffer_atomic_add_f32 v108, v7, s[32:35], 0 offen          // 0000000080A0: E1341000 80086C07
	v_mfma_f32_16x16x32_f16 v[40:43], v[236:239], a[36:39], v[40:43]// 0000000080A8: D3D40028 14A249EC
	ds_read_b128 v[80:83], v12 offset:24576                    // 0000000080B0: D9FE6000 5000000C
	ds_read_b128 v[84:87], v12 offset:25600                    // 0000000080B8: D9FE6400 5400000C
	s_waitcnt lgkmcnt(10)                                      // 0000000080C0: BF8CCA7F
	v_mfma_f32_16x16x32_f16 v[40:43], v[240:243], a[40:43], v[40:43]// 0000000080C4: D3D40028 14A251F0
	v_fma_f32 v36, v36, s57, -v104                             // 0000000080CC: D1CB0024 85A07324
	v_fma_f32 v37, v37, s57, -v105                             // 0000000080D4: D1CB0025 85A47325
	v_mfma_f32_16x16x32_f16 v[40:43], v[244:247], a[44:47], v[40:43]// 0000000080DC: D3D40028 14A259F4
	ds_read_b64_tr_b16 v[88:89], v13 offset:22528              // 0000000080E4: D9C65800 5800000D
	ds_read_b64_tr_b16 v[90:91], v13 offset:22784              // 0000000080EC: D9C65900 5A00000D
	s_waitcnt lgkmcnt(10)                                      // 0000000080F4: BF8CCA7F
	v_mfma_f32_16x16x32_f16 v[44:47], v[224:227], a[48:51], 0  // 0000000080F8: D3D4002C 120261E0
	v_fma_f32 v38, v38, s57, -v106                             // 000000008100: D1CB0026 85A87326
	v_fma_f32 v39, v39, s57, -v107                             // 000000008108: D1CB0027 85AC7327
	v_mfma_f32_16x16x32_f16 v[44:47], v[228:231], a[52:55], v[44:47]// 000000008110: D3D4002C 14B269E4
	ds_read_b64_tr_b16 v[92:93], v13 offset:23552              // 000000008118: D9C65C00 5C00000D
	ds_read_b64_tr_b16 v[94:95], v13 offset:23808              // 000000008120: D9C65D00 5E00000D
	s_waitcnt lgkmcnt(10)                                      // 000000008128: BF8CCA7F
	v_mfma_f32_16x16x32_f16 v[44:47], v[232:235], a[56:59], v[44:47]// 00000000812C: D3D4002C 14B271E8
	v_fma_f32 v40, v40, s57, -v104                             // 000000008134: D1CB0028 85A07328
	v_fma_f32 v41, v41, s57, -v105                             // 00000000813C: D1CB0029 85A47329
	buffer_atomic_add_f32 v109, v8, s[32:35], 0 offen          // 000000008144: E1341000 80086D08
	v_mfma_f32_16x16x32_f16 v[44:47], v[236:239], a[60:63], v[44:47]// 00000000814C: D3D4002C 14B279EC
	ds_read_b64_tr_b16 v[96:97], v13 offset:24576              // 000000008154: D9C66000 6000000D
	ds_read_b64_tr_b16 v[98:99], v13 offset:24832              // 00000000815C: D9C66100 6200000D
	s_waitcnt lgkmcnt(10)                                      // 000000008164: BF8CCA7F
	v_mfma_f32_16x16x32_f16 v[44:47], v[240:243], v[248:251], v[44:47]// 000000008168: D3D4002C 04B3F1F0
	v_fma_f32 v42, v42, s57, -v106                             // 000000008170: D1CB002A 85A8732A
	v_fma_f32 v43, v43, s57, -v107                             // 000000008178: D1CB002B 85AC732B
	v_mfma_f32_16x16x32_f16 v[44:47], v[244:247], v[252:255], v[44:47]// 000000008180: D3D4002C 04B3F9F4
	ds_read_b64_tr_b16 v[100:101], v13 offset:25600            // 000000008188: D9C66400 6400000D
	ds_read_b64_tr_b16 v[102:103], v13 offset:25856            // 000000008190: D9C66500 6600000D
	s_cmp_lt_i32 s98, 0xc0                                     // 000000008198: BF04FF62 000000C0
	s_cbranch_scc0 label_10CF                                  // 0000000081A0: BF84004D
	s_cmp_le_i32 s98, 64                                       // 0000000081A4: BF05C062
	s_cbranch_scc1 label_1086                                  // 0000000081A8: BF850007
	s_cmp_le_i32 s98, 0x80                                     // 0000000081AC: BF05FF62 00000080
	s_cbranch_scc1 label_109E                                  // 0000000081B4: BF850017
	s_cmp_lt_i32 s98, 0xc0                                     // 0000000081B8: BF04FF62 000000C0
	s_cbranch_scc1 label_10B6                                  // 0000000081C0: BF85002C
	s_branch label_10CF                                        // 0000000081C4: BF820044

00000000000081c8 <label_1086>:
	s_mov_b32 s60, 0                                           // 0000000081C8: BEBC0080
	v_and_b32_e32 v32, 15, v0                                  // 0000000081CC: 2640008F
	v_add_u32_e64 v32, v32, s60                                // 0000000081D0: D1340020 00007920
	v_mul_i32_i24_e64 v33, s46, 16                             // 0000000081D8: D1060021 0001202E
	v_add_u32_e32 v32, v32, v33                                // 0000000081E0: 68404320
	v_cmp_lt_u32_e64 s[60:61], v32, s98                        // 0000000081E4: D0C9003C 0000C520
	s_nop 1                                                    // 0000000081EC: BF800001
	v_cndmask_b32_e64 v36, v127, v36, s[60:61]                 // 0000000081F0: D1000024 00F2497F
	v_cndmask_b32_e64 v37, v127, v37, s[60:61]                 // 0000000081F8: D1000025 00F24B7F
	v_cndmask_b32_e64 v38, v127, v38, s[60:61]                 // 000000008200: D1000026 00F24D7F
	v_cndmask_b32_e64 v39, v127, v39, s[60:61]                 // 000000008208: D1000027 00F24F7F
	s_branch label_10B1                                        // 000000008210: BF820013

0000000000008214 <label_109E>:
	s_mov_b32 s60, 64                                          // 000000008214: BEBC00C0
	v_and_b32_e32 v32, 15, v0                                  // 000000008218: 2640008F
	v_add_u32_e64 v32, v32, s60                                // 00000000821C: D1340020 00007920
	v_mul_i32_i24_e64 v33, s46, 16                             // 000000008224: D1060021 0001202E
	v_add_u32_e32 v32, v32, v33                                // 00000000822C: 68404320
	v_cmp_lt_u32_e64 s[60:61], v32, s98                        // 000000008230: D0C9003C 0000C520
	s_nop 1                                                    // 000000008238: BF800001
	v_cndmask_b32_e64 v40, v127, v40, s[60:61]                 // 00000000823C: D1000028 00F2517F
	v_cndmask_b32_e64 v41, v127, v41, s[60:61]                 // 000000008244: D1000029 00F2537F
	v_cndmask_b32_e64 v42, v127, v42, s[60:61]                 // 00000000824C: D100002A 00F2557F
	v_cndmask_b32_e64 v43, v127, v43, s[60:61]                 // 000000008254: D100002B 00F2577F
	s_branch label_10CA                                        // 00000000825C: BF820019

0000000000008260 <label_10B1>:
	v_mov_b32_e32 v40, v127                                    // 000000008260: 7E50037F
	v_mov_b32_e32 v41, v127                                    // 000000008264: 7E52037F
	v_mov_b32_e32 v42, v127                                    // 000000008268: 7E54037F
	v_mov_b32_e32 v43, v127                                    // 00000000826C: 7E56037F
	s_branch label_10CA                                        // 000000008270: BF820014

0000000000008274 <label_10B6>:
	s_mov_b32 s60, 0x80                                        // 000000008274: BEBC00FF 00000080
	v_and_b32_e32 v32, 15, v0                                  // 00000000827C: 2640008F
	v_add_u32_e64 v32, v32, s60                                // 000000008280: D1340020 00007920
	v_mul_i32_i24_e64 v33, s46, 16                             // 000000008288: D1060021 0001202E
	v_add_u32_e32 v32, v32, v33                                // 000000008290: 68404320
	v_cmp_lt_u32_e64 s[60:61], v32, s98                        // 000000008294: D0C9003C 0000C520
	s_nop 1                                                    // 00000000829C: BF800001
	v_cndmask_b32_e64 v44, v127, v44, s[60:61]                 // 0000000082A0: D100002C 00F2597F
	v_cndmask_b32_e64 v45, v127, v45, s[60:61]                 // 0000000082A8: D100002D 00F25B7F
	v_cndmask_b32_e64 v46, v127, v46, s[60:61]                 // 0000000082B0: D100002E 00F25D7F
	v_cndmask_b32_e64 v47, v127, v47, s[60:61]                 // 0000000082B8: D100002F 00F25F7F
	s_branch label_10CF                                        // 0000000082C0: BF820005

00000000000082c4 <label_10CA>:
	v_mov_b32_e32 v44, v127                                    // 0000000082C4: 7E58037F
	v_mov_b32_e32 v45, v127                                    // 0000000082C8: 7E5A037F
	v_mov_b32_e32 v46, v127                                    // 0000000082CC: 7E5C037F
	v_mov_b32_e32 v47, v127                                    // 0000000082D0: 7E5E037F
	s_branch label_10CF                                        // 0000000082D4: BF820000

00000000000082d8 <label_10CF>:
	s_waitcnt lgkmcnt(8)                                       // 0000000082D8: BF8CC87F
	v_mfma_f32_16x16x32_f16 v[60:63], v[72:75], a[64:67], 0    // 0000000082DC: D3D4003C 12028148
	v_exp_f32_e32 v36, v36                                     // 0000000082E4: 7E484124
	v_exp_f32_e32 v37, v37                                     // 0000000082E8: 7E4A4125
	v_mfma_f32_16x16x32_f16 v[60:63], v[76:79], a[68:71], v[60:63]// 0000000082EC: D3D4003C 14F2894C
	v_exp_f32_e32 v38, v38                                     // 0000000082F4: 7E4C4126
	v_exp_f32_e32 v39, v39                                     // 0000000082F8: 7E4E4127
	v_mfma_f32_16x16x32_f16 v[60:63], v[80:83], a[72:75], v[60:63]// 0000000082FC: D3D4003C 14F29150
	v_fma_f32 v44, v44, s57, -v104                             // 000000008304: D1CB002C 85A0732C
	v_fma_f32 v45, v45, s57, -v105                             // 00000000830C: D1CB002D 85A4732D
	v_exp_f32_e32 v40, v40                                     // 000000008314: 7E504128
	v_exp_f32_e32 v41, v41                                     // 000000008318: 7E524129
	buffer_atomic_add_f32 v110, v9, s[32:35], 0 offen          // 00000000831C: E1341000 80086E09
	v_mfma_f32_16x16x32_f16 v[60:63], v[84:87], a[76:79], v[60:63]// 000000008324: D3D4003C 14F29954
	ds_read_b64_tr_b16 v[224:225], v13 offset:6144             // 00000000832C: D9C61800 E000000D
	ds_read_b64_tr_b16 v[226:227], v13 offset:6400             // 000000008334: D9C61900 E200000D
	ds_read_b64_tr_b16 v[228:229], v13 offset:7168             // 00000000833C: D9C61C00 E400000D
	ds_read_b64_tr_b16 v[230:231], v13 offset:7424             // 000000008344: D9C61D00 E600000D
	v_mfma_f32_16x16x32_f16 v[64:67], v[72:75], a[80:83], 0    // 00000000834C: D3D40040 1202A148
	v_fma_f32 v46, v46, s57, -v106                             // 000000008354: D1CB002E 85A8732E
	v_fma_f32 v47, v47, s57, -v107                             // 00000000835C: D1CB002F 85AC732F
	v_exp_f32_e32 v42, v42                                     // 000000008364: 7E54412A
	v_exp_f32_e32 v43, v43                                     // 000000008368: 7E56412B
	v_mfma_f32_16x16x32_f16 v[64:67], v[76:79], a[84:87], v[64:67]// 00000000836C: D3D40040 1502A94C
	ds_read_b64_tr_b16 v[232:233], v13 offset:8192             // 000000008374: D9C62000 E800000D
	ds_read_b64_tr_b16 v[234:235], v13 offset:8448             // 00000000837C: D9C62100 EA00000D
	ds_read_b64_tr_b16 v[236:237], v13 offset:9216             // 000000008384: D9C62400 EC00000D
	ds_read_b64_tr_b16 v[238:239], v13 offset:9472             // 00000000838C: D9C62500 EE00000D
	v_mfma_f32_16x16x32_f16 v[64:67], v[80:83], a[88:91], v[64:67]// 000000008394: D3D40040 1502B150
	v_exp_f32_e32 v44, v44                                     // 00000000839C: 7E58412C
	v_exp_f32_e32 v45, v45                                     // 0000000083A0: 7E5A412D
	v_mfma_f32_16x16x32_f16 v[64:67], v[84:87], a[92:95], v[64:67]// 0000000083A4: D3D40040 1502B954
	v_cvt_pk_f16_f32 v120, v36, v37                            // 0000000083AC: D2670078 00024B24
	v_cvt_pk_f16_f32 v121, v38, v39                            // 0000000083B4: D2670079 00024F26
	v_cvt_pk_f16_f32 v122, v40, v41                            // 0000000083BC: D267007A 00025328
	v_cvt_pk_f16_f32 v123, v42, v43                            // 0000000083C4: D267007B 0002572A
	v_mfma_f32_16x16x32_f16 v[68:71], v[72:75], a[96:99], 0    // 0000000083CC: D3D40044 1202C148
	v_exp_f32_e32 v46, v46                                     // 0000000083D4: 7E5C412E
	v_exp_f32_e32 v47, v47                                     // 0000000083D8: 7E5E412F
	v_mfma_f32_16x16x32_f16 v[68:71], v[76:79], a[100:103], v[68:71]// 0000000083DC: D3D40044 1512C94C
	v_permlane16_swap_b32_e32 v120, v122                       // 0000000083E4: 7EF0B37A
	v_permlane16_swap_b32_e32 v121, v123                       // 0000000083E8: 7EF2B37B
	v_mfma_f32_16x16x32_f16 v[68:71], v[80:83], a[104:107], v[68:71]// 0000000083EC: D3D40044 1512D150
	v_cvt_pk_f16_f32 v124, v44, v45                            // 0000000083F4: D267007C 00025B2C
	v_cvt_pk_f16_f32 v125, v46, v47                            // 0000000083FC: D267007D 00025F2E
	buffer_atomic_add_f32 v111, v10, s[32:35], 0 offen         // 000000008404: E1341000 80086F0A
	v_mfma_f32_16x16x32_f16 v[68:71], v[84:87], a[108:111], v[68:71]// 00000000840C: D3D40044 1512D954
	ds_read_b64_tr_b16 v[240:241], v13 offset:10240            // 000000008414: D9C62800 F000000D
	ds_read_b64_tr_b16 v[242:243], v13 offset:10496            // 00000000841C: D9C62900 F200000D
	ds_read_b64_tr_b16 v[244:245], v13 offset:11264            // 000000008424: D9C62C00 F400000D
	ds_read_b64_tr_b16 v[246:247], v13 offset:11520            // 00000000842C: D9C62D00 F600000D
	s_waitcnt lgkmcnt(12)                                      // 000000008434: BF8CCC7F
	v_mfma_f32_32x32x16_f16 v[128:143], v[88:91], v[120:123], v[128:143]// 000000008438: D3D50080 0602F158
	v_subrev_f32_dpp v60, v126, v60 quad_perm:[0,0,0,0] row_mask:0xf bank_mask:0xf// 000000008440: 067878FA FF00007E
	v_subrev_f32_dpp v61, v126, v61 quad_perm:[1,1,1,1] row_mask:0xf bank_mask:0xf// 000000008448: 067A7AFA FF00557E
	v_subrev_f32_dpp v62, v126, v62 quad_perm:[2,2,2,2] row_mask:0xf bank_mask:0xf// 000000008450: 067C7CFA FF00AA7E
	v_subrev_f32_dpp v63, v126, v63 quad_perm:[3,3,3,3] row_mask:0xf bank_mask:0xf// 000000008458: 067E7EFA FF00FF7E
	v_subrev_f32_dpp v64, v126, v64 quad_perm:[0,0,0,0] row_mask:0xf bank_mask:0xf// 000000008460: 068080FA FF00007E
	v_subrev_f32_dpp v65, v126, v65 quad_perm:[1,1,1,1] row_mask:0xf bank_mask:0xf// 000000008468: 068282FA FF00557E
	v_subrev_f32_dpp v66, v126, v66 quad_perm:[2,2,2,2] row_mask:0xf bank_mask:0xf// 000000008470: 068484FA FF00AA7E
	v_subrev_f32_dpp v67, v126, v67 quad_perm:[3,3,3,3] row_mask:0xf bank_mask:0xf// 000000008478: 068686FA FF00FF7E
	v_mul_f32_e32 v60, v36, v60                                // 000000008480: 0A787924
	v_mul_f32_e32 v61, v37, v61                                // 000000008484: 0A7A7B25
	v_mul_f32_e32 v62, v38, v62                                // 000000008488: 0A7C7D26
	v_mul_f32_e32 v63, v39, v63                                // 00000000848C: 0A7E7F27
	v_mfma_f32_32x32x16_f16 v[144:159], v[92:95], v[120:123], v[144:159]// 000000008490: D3D50090 0642F15C
	ds_read_b64_tr_b16 a[0:1], v19                             // 000000008498: DBC60000 00000013
	ds_read_b64_tr_b16 a[2:3], v19 offset:256                  // 0000000084A0: DBC60100 02000013
	ds_read_b64_tr_b16 a[4:5], v19 offset:12288                // 0000000084A8: DBC63000 04000013
	ds_read_b64_tr_b16 a[6:7], v19 offset:12544                // 0000000084B0: DBC63100 06000013
	ds_read_b64_tr_b16 a[8:9], v19 offset:24576                // 0000000084B8: DBC66000 08000013
	buffer_atomic_add_f32 v112, v7, s[32:35], 0 offen offset:64// 0000000084C0: E1341040 80087007
	v_mfma_f32_32x32x16_f16 v[160:175], v[96:99], v[120:123], v[160:175]// 0000000084C8: D3D500A0 0682F160
	v_mul_f32_e32 v64, v40, v64                                // 0000000084D0: 0A808128
	v_mul_f32_e32 v65, v41, v65                                // 0000000084D4: 0A828329
	v_mul_f32_e32 v66, v42, v66                                // 0000000084D8: 0A84852A
	v_mul_f32_e32 v67, v43, v67                                // 0000000084DC: 0A86872B
	v_permlane16_swap_b32_e32 v88, v90                         // 0000000084E0: 7EB0B35A
	v_permlane16_swap_b32_e32 v89, v91                         // 0000000084E4: 7EB2B35B
	v_cvt_pk_f16_f32 v60, v60, v61                             // 0000000084E8: D267003C 00027B3C
	v_cvt_pk_f16_f32 v61, v62, v63                             // 0000000084F0: D267003D 00027F3E
	v_cvt_pk_f16_f32 v62, v64, v65                             // 0000000084F8: D267003E 00028340
	v_cvt_pk_f16_f32 v63, v66, v67                             // 000000008500: D267003F 00028742
	v_permlane16_swap_b32_e32 v92, v94                         // 000000008508: 7EB8B35E
	v_permlane16_swap_b32_e32 v93, v95                         // 00000000850C: 7EBAB35F
	v_mfma_f32_32x32x16_f16 v[176:191], v[100:103], v[120:123], v[176:191]// 000000008510: D3D500B0 06C2F164
	ds_read_b64_tr_b16 a[10:11], v19 offset:24832              // 000000008518: DBC66100 0A000013
	ds_read_b64_tr_b16 a[12:13], v19 offset:36864              // 000000008520: DBC69000 0C000013
	ds_read_b64_tr_b16 a[14:15], v19 offset:37120              // 000000008528: DBC69100 0E000013
	ds_read_b64_tr_b16 a[16:17], v19 offset:49152              // 000000008530: DBC6C000 10000013
	ds_read_b64_tr_b16 a[18:19], v19 offset:49408              // 000000008538: DBC6C100 12000013
	ds_read_b32 v104, v16 offset:38656                         // 000000008540: D86C9700 68000010
	v_mfma_f32_16x16x16_f16 v[192:195], v[88:89], v[124:125], v[192:195]// 000000008548: D3CD00C0 0702F958
	v_permlane16_swap_b32_e32 v96, v98                         // 000000008550: 7EC0B362
	v_permlane16_swap_b32_e32 v97, v99                         // 000000008554: 7EC2B363
	v_subrev_f32_dpp v68, v126, v68 quad_perm:[0,0,0,0] row_mask:0xf bank_mask:0xf// 000000008558: 068888FA FF00007E
	v_subrev_f32_dpp v69, v126, v69 quad_perm:[1,1,1,1] row_mask:0xf bank_mask:0xf// 000000008560: 068A8AFA FF00557E
	v_mfma_f32_16x16x16_f16 v[196:199], v[90:91], v[124:125], v[196:199]// 000000008568: D3CD00C4 0712F95A
	buffer_atomic_add_f32 v113, v8, s[32:35], 0 offen offset:64// 000000008570: E1341040 80087108
	ds_write_b64 v15, v[60:61] offset:30720                    // 000000008578: D89A7800 00003C0F
	ds_write_b64 v15, v[62:63] offset:33024                    // 000000008580: D89A8100 00003E0F
	v_mfma_f32_16x16x16_f16 v[200:203], v[92:93], v[124:125], v[200:203]// 000000008588: D3CD00C8 0722F95C
	v_permlane16_swap_b32_e32 v100, v102                       // 000000008590: 7EC8B366
	v_permlane16_swap_b32_e32 v101, v103                       // 000000008594: 7ECAB367
	v_subrev_f32_dpp v70, v126, v70 quad_perm:[2,2,2,2] row_mask:0xf bank_mask:0xf// 000000008598: 068C8CFA FF00AA7E
	v_subrev_f32_dpp v71, v126, v71 quad_perm:[3,3,3,3] row_mask:0xf bank_mask:0xf// 0000000085A0: 068E8EFA FF00FF7E
	v_mfma_f32_16x16x16_f16 v[204:207], v[94:95], v[124:125], v[204:207]// 0000000085A8: D3CD00CC 0732F95E
	v_permlane16_swap_b32_e32 v60, v62                         // 0000000085B0: 7E78B33E
	v_permlane16_swap_b32_e32 v61, v63                         // 0000000085B4: 7E7AB33F
	v_mfma_f32_16x16x16_f16 v[208:211], v[96:97], v[124:125], v[208:211]// 0000000085B8: D3CD00D0 0742F960
	v_mul_f32_e32 v68, v44, v68                                // 0000000085C0: 0A88892C
	v_mul_f32_e32 v69, v45, v69                                // 0000000085C4: 0A8A8B2D
	v_mul_f32_e32 v70, v46, v70                                // 0000000085C8: 0A8C8D2E
	v_mfma_f32_16x16x16_f16 v[212:215], v[98:99], v[124:125], v[212:215]// 0000000085CC: D3CD00D4 0752F962
	ds_read_b64_tr_b16 a[20:21], v19 offset:61440              // 0000000085D4: DBC6F000 14000013
	ds_read_b64_tr_b16 a[22:23], v19 offset:61696              // 0000000085DC: DBC6F100 16000013
	ds_read_b64_tr_b16 a[24:25], v20                           // 0000000085E4: DBC60000 18000014
	v_mfma_f32_16x16x16_f16 v[216:219], v[100:101], v[124:125], v[216:219]// 0000000085EC: D3CD00D8 0762F964
	v_mul_f32_e32 v71, v47, v71                                // 0000000085F4: 0A8E8F2F
	v_cvt_pk_f16_f32 v64, v68, v69                             // 0000000085F8: D2670040 00028B44
	v_cvt_pk_f16_f32 v65, v70, v71                             // 000000008600: D2670041 00028F46
	v_mfma_f32_16x16x16_f16 v[220:223], v[102:103], v[124:125], v[220:223]// 000000008608: D3CD00DC 0772F966
	ds_read_b32 v126, v16 offset:38912                         // 000000008610: D86C9800 7E000010
	ds_read_b64_tr_b16 a[26:27], v20 offset:256                // 000000008618: DBC60100 1A000014
	ds_read_b64_tr_b16 a[28:29], v20 offset:12288              // 000000008620: DBC63000 1C000014
	s_waitcnt lgkmcnt(8)                                       // 000000008628: BF8CC87F
	v_mfma_f32_32x32x16_f16 a[112:127], v[224:227], v[60:63], a[112:127]// 00000000862C: D3D58070 05C279E0
	v_mul_f32_e32 v104, s48, v104                              // 000000008634: 0AD0D030
	buffer_atomic_add_f32 v114, v9, s[32:35], 0 offen offset:64// 000000008638: E1341040 80087209
	v_mfma_f32_32x32x16_f16 a[128:143], v[228:231], v[60:63], a[128:143]// 000000008640: D3D58080 060279E4
	ds_read_b64_tr_b16 a[30:31], v20 offset:12544              // 000000008648: DBC63100 1E000014
	ds_write_b64 v15, v[64:65] offset:35328                    // 000000008650: D89A8A00 0000400F
	ds_read_b64_tr_b16 a[32:33], v20 offset:24576              // 000000008658: DBC66000 20000014
	ds_read_b64_tr_b16 a[34:35], v20 offset:24832              // 000000008660: DBC66100 22000014
	v_mfma_f32_32x32x16_f16 a[144:159], v[232:235], v[60:63], a[144:159]// 000000008668: D3D58090 064279E8
	.long 0x7fc0b3e2                                           // 000000008670: 7FC0B3E2
	.long 0x7fc2b3e3                                           // 000000008674: 7FC2B3E3
	buffer_atomic_add_f32 v115, v10, s[32:35], 0 offen offset:64// 000000008678: E1341040 8008730A
	v_mfma_f32_32x32x16_f16 a[160:175], v[236:239], v[60:63], a[160:175]// 000000008680: D3D580A0 068279EC
	ds_read_b64_tr_b16 a[36:37], v20 offset:36864              // 000000008688: DBC69000 24000014
	ds_read_b64_tr_b16 a[38:39], v20 offset:37120              // 000000008690: DBC69100 26000014
	ds_read_b64_tr_b16 a[40:41], v20 offset:49152              // 000000008698: DBC6C000 28000014
	ds_read_b64_tr_b16 a[42:43], v20 offset:49408              // 0000000086A0: DBC6C100 2A000014
	ds_read_b64_tr_b16 a[44:45], v20 offset:61440              // 0000000086A8: DBC6F000 2C000014
	ds_read_b64_tr_b16 a[46:47], v20 offset:61696              // 0000000086B0: DBC6F100 2E000014
	s_waitcnt lgkmcnt(8)                                       // 0000000086B8: BF8CC87F
	s_barrier                                                  // 0000000086BC: BF8A0000
	v_mfma_f32_32x32x16_f16 a[176:191], v[240:243], v[60:63], a[176:191]// 0000000086C0: D3D580B0 06C279F0
	.long 0x7fc8b3e6                                           // 0000000086C8: 7FC8B3E6
	.long 0x7fcab3e7                                           // 0000000086CC: 7FCAB3E7
	v_mov_b32_dpp v107, v104 quad_perm:[3,3,3,3] row_mask:0xf bank_mask:0xf// 0000000086D0: 7ED602FA FF00FF68
	v_mov_b32_dpp v106, v104 quad_perm:[2,2,2,2] row_mask:0xf bank_mask:0xf// 0000000086D8: 7ED402FA FF00AA68
	buffer_atomic_add_f32 v116, v7, s[32:35], 0 offen offset:128// 0000000086E0: E1341080 80087407
	v_mfma_f32_32x32x16_f16 a[192:207], v[244:247], v[60:63], a[192:207]// 0000000086E8: D3D580C0 070279F4
	ds_read_b64_tr_b16 v[36:37], v14 offset:30720              // 0000000086F0: D9C67800 2400000E
	ds_read_b64_tr_b16 v[38:39], v14 offset:30752              // 0000000086F8: D9C67820 2600000E
	ds_read_b64_tr_b16 v[40:41], v14 offset:31872              // 000000008700: D9C67C80 2800000E
	ds_read_b64_tr_b16 v[42:43], v14 offset:31904              // 000000008708: D9C67CA0 2A00000E
	ds_read_b64_tr_b16 v[44:45], v14 offset:33024              // 000000008710: D9C68100 2C00000E
	ds_read_b64_tr_b16 v[46:47], v14 offset:33056              // 000000008718: D9C68120 2E00000E
	v_mfma_f32_16x16x16_f16 a[208:211], v[224:225], v[64:65], a[208:211]// 000000008720: D3CD80D0 074281E0
	.long 0x7fd0b3ea                                           // 000000008728: 7FD0B3EA
	.long 0x7fd2b3eb                                           // 00000000872C: 7FD2B3EB
	v_mfma_f32_16x16x16_f16 a[212:215], v[226:227], v[64:65], a[212:215]// 000000008730: D3CD80D4 075281E2
	ds_read_b64_tr_b16 v[48:49], v14 offset:34176              // 000000008738: D9C68580 3000000E
	ds_read_b64_tr_b16 v[50:51], v14 offset:34208              // 000000008740: D9C685A0 3200000E
	ds_read_b64_tr_b16 v[52:53], v14 offset:35328              // 000000008748: D9C68A00 3400000E
	v_mfma_f32_16x16x16_f16 a[216:219], v[228:229], v[64:65], a[216:219]// 000000008750: D3CD80D8 076281E4
	v_permlane16_swap_b32_e32 v236, v238                       // 000000008758: 7FD8B3EE
	v_permlane16_swap_b32_e32 v237, v239                       // 00000000875C: 7FDAB3EF
	buffer_atomic_add_f32 v117, v8, s[32:35], 0 offen offset:128// 000000008760: E1341080 80087508
	v_mfma_f32_16x16x16_f16 a[220:223], v[230:231], v[64:65], a[220:223]// 000000008768: D3CD80DC 077281E6
	ds_read_b64_tr_b16 v[54:55], v14 offset:35360              // 000000008770: D9C68A20 3600000E
	ds_read_b64_tr_b16 v[56:57], v14 offset:36480              // 000000008778: D9C68E80 3800000E
	ds_read_b64_tr_b16 v[58:59], v14 offset:36512              // 000000008780: D9C68EA0 3A00000E
	v_mfma_f32_16x16x16_f16 a[224:227], v[232:233], v[64:65], a[224:227]// 000000008788: D3CD80E0 078281E8
	v_permlane16_swap_b32_e32 v240, v242                       // 000000008790: 7FE0B3F2
	v_permlane16_swap_b32_e32 v241, v243                       // 000000008794: 7FE2B3F3
	v_mfma_f32_16x16x16_f16 a[228:231], v[234:235], v[64:65], a[228:231]// 000000008798: D3CD80E4 079281EA
	ds_read_b64_tr_b16 a[48:49], v21                           // 0000000087A0: DBC60000 30000015
	ds_read_b64_tr_b16 a[50:51], v21 offset:256                // 0000000087A8: DBC60100 32000015
	ds_read_b64_tr_b16 a[52:53], v21 offset:12288              // 0000000087B0: DBC63000 34000015
	v_mfma_f32_16x16x16_f16 a[232:235], v[236:237], v[64:65], a[232:235]// 0000000087B8: D3CD80E8 07A281EC
	v_permlane16_swap_b32_e32 v244, v246                       // 0000000087C0: 7FE8B3F6
	v_permlane16_swap_b32_e32 v245, v247                       // 0000000087C4: 7FEAB3F7
	v_mfma_f32_16x16x16_f16 a[236:239], v[238:239], v[64:65], a[236:239]// 0000000087C8: D3CD80EC 07B281EE
	ds_read_b64_tr_b16 a[54:55], v21 offset:12544              // 0000000087D0: DBC63100 36000015
	ds_read_b64_tr_b16 a[56:57], v21 offset:24576              // 0000000087D8: DBC66000 38000015
	ds_read_b64_tr_b16 a[58:59], v21 offset:24832              // 0000000087E0: DBC66100 3A000015
	v_mfma_f32_16x16x16_f16 a[240:243], v[240:241], v[64:65], a[240:243]// 0000000087E8: D3CD80F0 07C281F0
	v_mov_b32_dpp v105, v104 quad_perm:[1,1,1,1] row_mask:0xf bank_mask:0xf// 0000000087F0: 7ED202FA FF005568
	buffer_atomic_add_f32 v118, v9, s[32:35], 0 offen offset:128// 0000000087F8: E1341080 80087609
	v_mfma_f32_16x16x16_f16 a[244:247], v[242:243], v[64:65], a[244:247]// 000000008800: D3CD80F4 07D281F2
	ds_read_b64_tr_b16 a[60:61], v21 offset:36864              // 000000008808: DBC69000 3C000015
	ds_read_b64_tr_b16 a[62:63], v21 offset:37120              // 000000008810: DBC69100 3E000015
	ds_read_b64_tr_b16 v[248:249], v21 offset:49152            // 000000008818: D9C6C000 F8000015
	v_mfma_f32_16x16x16_f16 a[248:251], v[244:245], v[64:65], a[248:251]// 000000008820: D3CD80F8 07E281F4
	v_mov_b32_dpp v104, v104 quad_perm:[0,0,0,0] row_mask:0xf bank_mask:0xf// 000000008828: 7ED002FA FF000068
	buffer_atomic_add_f32 v119, v10, s[32:35], 0 offen offset:128// 000000008830: E1341080 8008770A
	v_mfma_f32_16x16x16_f16 a[252:255], v[246:247], v[64:65], a[252:255]// 000000008838: D3CD80FC 07F281F6
	ds_read_b64_tr_b16 v[250:251], v21 offset:49408            // 000000008840: D9C6C100 FA000015
	ds_read_b64_tr_b16 v[252:253], v21 offset:61440            // 000000008848: D9C6F000 FC000015
	ds_read_b64_tr_b16 v[254:255], v21 offset:61696            // 000000008850: D9C6F100 FE000015
	s_waitcnt vmcnt(12) lgkmcnt(6)                             // 000000008858: BF8C067C
	s_barrier                                                  // 00000000885C: BF8A0000
	v_mfma_f32_16x16x32_f16 v[108:111], v[36:39], a[0:3], 0    // 000000008860: D3D4006C 12020124
	s_mov_b32 m0, s80                                          // 000000008868: BEFC0050
	buffer_load_dwordx4 v1, s[8:11], 0 idxen lds               // 00000000886C: E05D2000 80020001
	v_mfma_f32_16x16x32_f16 v[108:111], v[40:43], a[4:7], v[108:111]// 000000008874: D3D4006C 15B20928
	ds_read_b128 v[224:227], v12 offset:12288                  // 00000000887C: D9FE3000 E000000C
	ds_read_b128 v[228:231], v12 offset:13312                  // 000000008884: D9FE3400 E400000C
	v_mfma_f32_16x16x32_f16 v[108:111], v[44:47], a[8:11], v[108:111]// 00000000888C: D3D4006C 15B2112C
	s_mov_b32 m0, s81                                          // 000000008894: BEFC0051
	buffer_load_dword v2, s[8:11], 0 idxen lds                 // 000000008898: E0512000 80020002
	v_mfma_f32_16x16x32_f16 v[108:111], v[48:51], a[12:15], v[108:111]// 0000000088A0: D3D4006C 15B21930
	ds_read_b128 v[232:235], v12 offset:14336                  // 0000000088A8: D9FE3800 E800000C
	ds_read_b128 v[236:239], v12 offset:15360                  // 0000000088B0: D9FE3C00 EC00000C
	v_mfma_f32_16x16x32_f16 v[108:111], v[52:55], a[16:19], v[108:111]// 0000000088B8: D3D4006C 15B22134
	s_mov_b32 m0, s82                                          // 0000000088C0: BEFC0052
	buffer_load_dword v3, s[8:11], 0 idxen lds                 // 0000000088C4: E0512000 80020003
	v_mfma_f32_16x16x32_f16 v[108:111], v[56:59], a[20:23], v[108:111]// 0000000088CC: D3D4006C 15B22938
	ds_read_b128 v[240:243], v12 offset:16384                  // 0000000088D4: D9FE4000 F000000C
	ds_read_b128 v[244:247], v12 offset:17408                  // 0000000088DC: D9FE4400 F400000C
	v_mfma_f32_16x16x32_f16 v[112:115], v[36:39], a[24:27], 0  // 0000000088E4: D3D40070 12023124
	s_mov_b32 m0, s87                                          // 0000000088EC: BEFC0057
	buffer_load_dwordx4 v4, s[20:23], 0 idxen lds              // 0000000088F0: E05D2000 80050004
	v_mfma_f32_16x16x32_f16 v[112:115], v[40:43], a[28:31], v[112:115]// 0000000088F8: D3D40070 15C23928
	ds_read_b128 a[0:3], v17                                   // 000000008900: DBFE0000 00000011
	ds_read_b128 a[4:7], v17 offset:1024                       // 000000008908: DBFE0400 04000011
	v_mfma_f32_16x16x32_f16 v[112:115], v[44:47], a[32:35], v[112:115]// 000000008910: D3D40070 15C2412C
	v_mul_f32_e32 v108, s47, v108                              // 000000008918: 0AD8D82F
	v_mul_f32_e32 v109, s47, v109                              // 00000000891C: 0ADADA2F
	s_mov_b32 m0, s75                                          // 000000008920: BEFC004B
	buffer_load_dword v11, s[24:27], 0 idxen lds               // 000000008924: E0512000 8006000B
	v_mfma_f32_16x16x32_f16 v[112:115], v[48:51], a[36:39], v[112:115]// 00000000892C: D3D40070 15C24930
	ds_read_b128 a[8:11], v17 offset:2048                      // 000000008934: DBFE0800 08000011
	ds_read_b128 a[12:15], v17 offset:3072                     // 00000000893C: DBFE0C00 0C000011
	v_mfma_f32_16x16x32_f16 v[112:115], v[52:55], a[40:43], v[112:115]// 000000008944: D3D40070 15C25134
	s_add_u32 s60, 64, s59                                     // 00000000894C: 803C3BC0
	s_cmp_lt_u32 s60, s58                                      // 000000008950: BF0A3A3C
	s_cselect_b32 s68, s68, 0                                  // 000000008954: 85448044
	s_cselect_b32 s97, s97, 0                                  // 000000008958: 85618061
	s_cselect_b32 s69, s69, 0                                  // 00000000895C: 85458045
	v_mfma_f32_16x16x32_f16 v[112:115], v[56:59], a[44:47], v[112:115]// 000000008960: D3D40070 15C25938
	ds_read_b128 a[16:19], v17 offset:4096                     // 000000008968: DBFE1000 10000011
	ds_read_b128 a[20:23], v17 offset:5120                     // 000000008970: DBFE1400 14000011
	v_mfma_f32_16x16x32_f16 v[116:119], v[36:39], a[48:51], 0  // 000000008978: D3D40074 12026124
	v_add_u32_e32 v1, s68, v1                                  // 000000008980: 68020244
	v_add_u32_e32 v2, s68, v2                                  // 000000008984: 68040444
	;; [unrolled: 1-line block ×3, first 2 shown]
	v_add_u32_e32 v4, s97, v4                                  // 00000000898C: 68080861
	v_add_u32_e32 v11, s69, v11                                // 000000008990: 68161645
	v_mfma_f32_16x16x32_f16 v[116:119], v[40:43], a[52:55], v[116:119]// 000000008994: D3D40074 15D26928
	ds_read_b128 a[24:27], v17 offset:24576                    // 00000000899C: DBFE6000 18000011
	ds_read_b128 a[28:31], v17 offset:25600                    // 0000000089A4: DBFE6400 1C000011
	s_waitcnt lgkmcnt(14)                                      // 0000000089AC: BF8CCE7F
	v_mfma_f32_16x16x32_f16 v[116:119], v[44:47], a[56:59], v[116:119]// 0000000089B0: D3D40074 15D2712C
	v_mul_f32_e32 v110, s47, v110                              // 0000000089B8: 0ADCDC2F
	v_mul_f32_e32 v111, s47, v111                              // 0000000089BC: 0ADEDE2F
	s_cmp_ge_u32 s59, 16                                       // 0000000089C0: BF09903B
	s_cselect_b32 s66, s67, s66                                // 0000000089C4: 85424243
	v_mfma_f32_16x16x32_f16 v[116:119], v[48:51], a[60:63], v[116:119]// 0000000089C8: D3D40074 15D27930
	ds_read_b128 a[32:35], v17 offset:26624                    // 0000000089D0: DBFE6800 20000011
	ds_read_b128 a[36:39], v17 offset:27648                    // 0000000089D8: DBFE6C00 24000011
	v_mfma_f32_16x16x32_f16 v[116:119], v[52:55], v[248:251], v[116:119]// 0000000089E0: D3D40074 05D3F134
	s_addk_i32 s59, 0x10                                       // 0000000089E8: B73B0010
	v_mul_f32_e32 v112, s47, v112                              // 0000000089EC: 0AE0E02F
	v_mul_f32_e32 v113, s47, v113                              // 0000000089F0: 0AE2E22F
	s_cmp_lt_i32 s59, s58                                      // 0000000089F4: BF043A3B
	v_mfma_f32_16x16x32_f16 v[116:119], v[56:59], v[252:255], v[116:119]// 0000000089F8: D3D40074 05D3F938
	ds_read_b128 a[40:43], v17 offset:28672                    // 000000008A00: DBFE7000 28000011
	ds_read_b128 a[44:47], v17 offset:29696                    // 000000008A08: DBFE7400 2C000011
	s_cbranch_scc0 label_0D7D                                  // 000000008A10: BF84FAE9
	s_waitcnt lgkmcnt(2)                                       // 000000008A14: BF8CC27F
	v_mfma_f32_16x16x32_f16 v[36:39], v[224:227], a[0:3], 0    // 000000008A18: D3D40024 120201E0
	v_add_u32_e32 v7, s66, v7                                  // 000000008A20: 680E0E42
	v_add_u32_e32 v8, s66, v8                                  // 000000008A24: 68101042
	v_mfma_f32_16x16x32_f16 v[36:39], v[228:231], a[4:7], v[36:39]// 000000008A28: D3D40024 149209E4
	ds_read_b128 a[48:51], v17 offset:49152                    // 000000008A30: DBFEC000 30000011
	ds_read_b128 a[52:55], v17 offset:50176                    // 000000008A38: DBFEC400 34000011
	v_mfma_f32_16x16x32_f16 v[36:39], v[232:235], a[8:11], v[36:39]// 000000008A40: D3D40024 149211E8
	v_add_u32_e32 v9, s66, v9                                  // 000000008A48: 68121242
	v_add_u32_e32 v10, s66, v10                                // 000000008A4C: 68141442
	v_mfma_f32_16x16x32_f16 v[36:39], v[236:239], a[12:15], v[36:39]// 000000008A50: D3D40024 149219EC
	ds_read_b128 a[56:59], v17 offset:51200                    // 000000008A58: DBFEC800 38000011
	ds_read_b128 a[60:63], v17 offset:52224                    // 000000008A60: DBFECC00 3C000011
	v_mfma_f32_16x16x32_f16 v[36:39], v[240:243], a[16:19], v[36:39]// 000000008A68: D3D40024 149221F0
	v_mul_f32_e32 v114, s47, v114                              // 000000008A70: 0AE4E42F
	v_mul_f32_e32 v115, s47, v115                              // 000000008A74: 0AE6E62F
	v_mfma_f32_16x16x32_f16 v[36:39], v[244:247], a[20:23], v[36:39]// 000000008A78: D3D40024 149229F4
	ds_read_b128 v[248:251], v17 offset:53248                  // 000000008A80: D9FED000 F8000011
	ds_read_b128 v[252:255], v17 offset:54272                  // 000000008A88: D9FED400 FC000011
	v_mfma_f32_16x16x32_f16 v[40:43], v[224:227], a[24:27], 0  // 000000008A90: D3D40028 120231E0
	v_mul_f32_e32 v116, s47, v116                              // 000000008A98: 0AE8E82F
	v_mul_f32_e32 v117, s47, v117                              // 000000008A9C: 0AEAEA2F
	v_mfma_f32_16x16x32_f16 v[40:43], v[228:231], a[28:31], v[40:43]// 000000008AA0: D3D40028 14A239E4
	ds_read_b128 v[72:75], v12 offset:26624                    // 000000008AA8: D9FE6800 4800000C
	ds_read_b128 v[76:79], v12 offset:27648                    // 000000008AB0: D9FE6C00 4C00000C
	v_mfma_f32_16x16x32_f16 v[40:43], v[232:235], a[32:35], v[40:43]// 000000008AB8: D3D40028 14A241E8
	v_mul_f32_e32 v118, s47, v118                              // 000000008AC0: 0AECEC2F
	v_mul_f32_e32 v119, s47, v119                              // 000000008AC4: 0AEEEE2F
	buffer_atomic_add_f32 v108, v7, s[32:35], 0 offen          // 000000008AC8: E1341000 80086C07
	v_mfma_f32_16x16x32_f16 v[40:43], v[236:239], a[36:39], v[40:43]// 000000008AD0: D3D40028 14A249EC
	ds_read_b128 v[80:83], v12 offset:28672                    // 000000008AD8: D9FE7000 5000000C
	ds_read_b128 v[84:87], v12 offset:29696                    // 000000008AE0: D9FE7400 5400000C
	s_waitcnt lgkmcnt(10)                                      // 000000008AE8: BF8CCA7F
	v_mfma_f32_16x16x32_f16 v[40:43], v[240:243], a[40:43], v[40:43]// 000000008AEC: D3D40028 14A251F0
	v_fma_f32 v36, v36, s57, -v104                             // 000000008AF4: D1CB0024 85A07324
	v_fma_f32 v37, v37, s57, -v105                             // 000000008AFC: D1CB0025 85A47325
	v_mfma_f32_16x16x32_f16 v[40:43], v[244:247], a[44:47], v[40:43]// 000000008B04: D3D40028 14A259F4
	ds_read_b64_tr_b16 v[88:89], v13 offset:26624              // 000000008B0C: D9C66800 5800000D
	ds_read_b64_tr_b16 v[90:91], v13 offset:26880              // 000000008B14: D9C66900 5A00000D
	s_waitcnt lgkmcnt(10)                                      // 000000008B1C: BF8CCA7F
	v_mfma_f32_16x16x32_f16 v[44:47], v[224:227], a[48:51], 0  // 000000008B20: D3D4002C 120261E0
	v_fma_f32 v38, v38, s57, -v106                             // 000000008B28: D1CB0026 85A87326
	v_fma_f32 v39, v39, s57, -v107                             // 000000008B30: D1CB0027 85AC7327
	v_mfma_f32_16x16x32_f16 v[44:47], v[228:231], a[52:55], v[44:47]// 000000008B38: D3D4002C 14B269E4
	ds_read_b64_tr_b16 v[92:93], v13 offset:27648              // 000000008B40: D9C66C00 5C00000D
	ds_read_b64_tr_b16 v[94:95], v13 offset:27904              // 000000008B48: D9C66D00 5E00000D
	s_waitcnt lgkmcnt(10)                                      // 000000008B50: BF8CCA7F
	v_mfma_f32_16x16x32_f16 v[44:47], v[232:235], a[56:59], v[44:47]// 000000008B54: D3D4002C 14B271E8
	v_fma_f32 v40, v40, s57, -v104                             // 000000008B5C: D1CB0028 85A07328
	v_fma_f32 v41, v41, s57, -v105                             // 000000008B64: D1CB0029 85A47329
	buffer_atomic_add_f32 v109, v8, s[32:35], 0 offen          // 000000008B6C: E1341000 80086D08
	v_mfma_f32_16x16x32_f16 v[44:47], v[236:239], a[60:63], v[44:47]// 000000008B74: D3D4002C 14B279EC
	ds_read_b64_tr_b16 v[96:97], v13 offset:28672              // 000000008B7C: D9C67000 6000000D
	ds_read_b64_tr_b16 v[98:99], v13 offset:28928              // 000000008B84: D9C67100 6200000D
	s_waitcnt lgkmcnt(10)                                      // 000000008B8C: BF8CCA7F
	v_mfma_f32_16x16x32_f16 v[44:47], v[240:243], v[248:251], v[44:47]// 000000008B90: D3D4002C 04B3F1F0
	v_fma_f32 v42, v42, s57, -v106                             // 000000008B98: D1CB002A 85A8732A
	v_fma_f32 v43, v43, s57, -v107                             // 000000008BA0: D1CB002B 85AC732B
	v_mfma_f32_16x16x32_f16 v[44:47], v[244:247], v[252:255], v[44:47]// 000000008BA8: D3D4002C 04B3F9F4
	ds_read_b64_tr_b16 v[100:101], v13 offset:29696            // 000000008BB0: D9C67400 6400000D
	ds_read_b64_tr_b16 v[102:103], v13 offset:29952            // 000000008BB8: D9C67500 6600000D
	s_cmp_lt_i32 s98, 0xc0                                     // 000000008BC0: BF04FF62 000000C0
	s_cbranch_scc0 label_135E                                  // 000000008BC8: BF84004D
	s_cmp_le_i32 s98, 64                                       // 000000008BCC: BF05C062
	s_cbranch_scc1 label_1315                                  // 000000008BD0: BF850007
	s_cmp_le_i32 s98, 0x80                                     // 000000008BD4: BF05FF62 00000080
	s_cbranch_scc1 label_132D                                  // 000000008BDC: BF850017
	s_cmp_lt_i32 s98, 0xc0                                     // 000000008BE0: BF04FF62 000000C0
	s_cbranch_scc1 label_1345                                  // 000000008BE8: BF85002C
	s_branch label_135E                                        // 000000008BEC: BF820044

0000000000008bf0 <label_1315>:
	s_mov_b32 s60, 0                                           // 000000008BF0: BEBC0080
	v_and_b32_e32 v32, 15, v0                                  // 000000008BF4: 2640008F
	v_add_u32_e64 v32, v32, s60                                // 000000008BF8: D1340020 00007920
	v_mul_i32_i24_e64 v33, s46, 16                             // 000000008C00: D1060021 0001202E
	v_add_u32_e32 v32, v32, v33                                // 000000008C08: 68404320
	v_cmp_lt_u32_e64 s[60:61], v32, s98                        // 000000008C0C: D0C9003C 0000C520
	s_nop 1                                                    // 000000008C14: BF800001
	v_cndmask_b32_e64 v36, v127, v36, s[60:61]                 // 000000008C18: D1000024 00F2497F
	v_cndmask_b32_e64 v37, v127, v37, s[60:61]                 // 000000008C20: D1000025 00F24B7F
	v_cndmask_b32_e64 v38, v127, v38, s[60:61]                 // 000000008C28: D1000026 00F24D7F
	v_cndmask_b32_e64 v39, v127, v39, s[60:61]                 // 000000008C30: D1000027 00F24F7F
	s_branch label_1340                                        // 000000008C38: BF820013

0000000000008c3c <label_132D>:
	s_mov_b32 s60, 64                                          // 000000008C3C: BEBC00C0
	v_and_b32_e32 v32, 15, v0                                  // 000000008C40: 2640008F
	v_add_u32_e64 v32, v32, s60                                // 000000008C44: D1340020 00007920
	v_mul_i32_i24_e64 v33, s46, 16                             // 000000008C4C: D1060021 0001202E
	v_add_u32_e32 v32, v32, v33                                // 000000008C54: 68404320
	v_cmp_lt_u32_e64 s[60:61], v32, s98                        // 000000008C58: D0C9003C 0000C520
	s_nop 1                                                    // 000000008C60: BF800001
	v_cndmask_b32_e64 v40, v127, v40, s[60:61]                 // 000000008C64: D1000028 00F2517F
	v_cndmask_b32_e64 v41, v127, v41, s[60:61]                 // 000000008C6C: D1000029 00F2537F
	v_cndmask_b32_e64 v42, v127, v42, s[60:61]                 // 000000008C74: D100002A 00F2557F
	v_cndmask_b32_e64 v43, v127, v43, s[60:61]                 // 000000008C7C: D100002B 00F2577F
	s_branch label_1359                                        // 000000008C84: BF820019

0000000000008c88 <label_1340>:
	v_mov_b32_e32 v40, v127                                    // 000000008C88: 7E50037F
	v_mov_b32_e32 v41, v127                                    // 000000008C8C: 7E52037F
	v_mov_b32_e32 v42, v127                                    // 000000008C90: 7E54037F
	v_mov_b32_e32 v43, v127                                    // 000000008C94: 7E56037F
	s_branch label_1359                                        // 000000008C98: BF820014

0000000000008c9c <label_1345>:
	s_mov_b32 s60, 0x80                                        // 000000008C9C: BEBC00FF 00000080
	v_and_b32_e32 v32, 15, v0                                  // 000000008CA4: 2640008F
	v_add_u32_e64 v32, v32, s60                                // 000000008CA8: D1340020 00007920
	v_mul_i32_i24_e64 v33, s46, 16                             // 000000008CB0: D1060021 0001202E
	v_add_u32_e32 v32, v32, v33                                // 000000008CB8: 68404320
	v_cmp_lt_u32_e64 s[60:61], v32, s98                        // 000000008CBC: D0C9003C 0000C520
	s_nop 1                                                    // 000000008CC4: BF800001
	v_cndmask_b32_e64 v44, v127, v44, s[60:61]                 // 000000008CC8: D100002C 00F2597F
	v_cndmask_b32_e64 v45, v127, v45, s[60:61]                 // 000000008CD0: D100002D 00F25B7F
	v_cndmask_b32_e64 v46, v127, v46, s[60:61]                 // 000000008CD8: D100002E 00F25D7F
	v_cndmask_b32_e64 v47, v127, v47, s[60:61]                 // 000000008CE0: D100002F 00F25F7F
	s_branch label_135E                                        // 000000008CE8: BF820005

0000000000008cec <label_1359>:
	v_mov_b32_e32 v44, v127                                    // 000000008CEC: 7E58037F
	v_mov_b32_e32 v45, v127                                    // 000000008CF0: 7E5A037F
	v_mov_b32_e32 v46, v127                                    // 000000008CF4: 7E5C037F
	v_mov_b32_e32 v47, v127                                    // 000000008CF8: 7E5E037F
	s_branch label_135E                                        // 000000008CFC: BF820000

0000000000008d00 <label_135E>:
	s_waitcnt lgkmcnt(8)                                       // 000000008D00: BF8CC87F
	v_mfma_f32_16x16x32_f16 v[60:63], v[72:75], a[64:67], 0    // 000000008D04: D3D4003C 12028148
	v_exp_f32_e32 v36, v36                                     // 000000008D0C: 7E484124
	v_exp_f32_e32 v37, v37                                     // 000000008D10: 7E4A4125
	v_mfma_f32_16x16x32_f16 v[60:63], v[76:79], a[68:71], v[60:63]// 000000008D14: D3D4003C 14F2894C
	v_exp_f32_e32 v38, v38                                     // 000000008D1C: 7E4C4126
	v_exp_f32_e32 v39, v39                                     // 000000008D20: 7E4E4127
	v_mfma_f32_16x16x32_f16 v[60:63], v[80:83], a[72:75], v[60:63]// 000000008D24: D3D4003C 14F29150
	v_fma_f32 v44, v44, s57, -v104                             // 000000008D2C: D1CB002C 85A0732C
	v_fma_f32 v45, v45, s57, -v105                             // 000000008D34: D1CB002D 85A4732D
	v_exp_f32_e32 v40, v40                                     // 000000008D3C: 7E504128
	v_exp_f32_e32 v41, v41                                     // 000000008D40: 7E524129
	buffer_atomic_add_f32 v110, v9, s[32:35], 0 offen          // 000000008D44: E1341000 80086E09
	v_mfma_f32_16x16x32_f16 v[60:63], v[84:87], a[76:79], v[60:63]// 000000008D4C: D3D4003C 14F29954
	ds_read_b64_tr_b16 v[224:225], v13 offset:12288            // 000000008D54: D9C63000 E000000D
	ds_read_b64_tr_b16 v[226:227], v13 offset:12544            // 000000008D5C: D9C63100 E200000D
	ds_read_b64_tr_b16 v[228:229], v13 offset:13312            // 000000008D64: D9C63400 E400000D
	ds_read_b64_tr_b16 v[230:231], v13 offset:13568            // 000000008D6C: D9C63500 E600000D
	v_mfma_f32_16x16x32_f16 v[64:67], v[72:75], a[80:83], 0    // 000000008D74: D3D40040 1202A148
	v_fma_f32 v46, v46, s57, -v106                             // 000000008D7C: D1CB002E 85A8732E
	v_fma_f32 v47, v47, s57, -v107                             // 000000008D84: D1CB002F 85AC732F
	v_exp_f32_e32 v42, v42                                     // 000000008D8C: 7E54412A
	v_exp_f32_e32 v43, v43                                     // 000000008D90: 7E56412B
	v_mfma_f32_16x16x32_f16 v[64:67], v[76:79], a[84:87], v[64:67]// 000000008D94: D3D40040 1502A94C
	ds_read_b64_tr_b16 v[232:233], v13 offset:14336            // 000000008D9C: D9C63800 E800000D
	ds_read_b64_tr_b16 v[234:235], v13 offset:14592            // 000000008DA4: D9C63900 EA00000D
	ds_read_b64_tr_b16 v[236:237], v13 offset:15360            // 000000008DAC: D9C63C00 EC00000D
	ds_read_b64_tr_b16 v[238:239], v13 offset:15616            // 000000008DB4: D9C63D00 EE00000D
	v_mfma_f32_16x16x32_f16 v[64:67], v[80:83], a[88:91], v[64:67]// 000000008DBC: D3D40040 1502B150
	v_exp_f32_e32 v44, v44                                     // 000000008DC4: 7E58412C
	v_exp_f32_e32 v45, v45                                     // 000000008DC8: 7E5A412D
	v_mfma_f32_16x16x32_f16 v[64:67], v[84:87], a[92:95], v[64:67]// 000000008DCC: D3D40040 1502B954
	v_cvt_pk_f16_f32 v120, v36, v37                            // 000000008DD4: D2670078 00024B24
	v_cvt_pk_f16_f32 v121, v38, v39                            // 000000008DDC: D2670079 00024F26
	v_cvt_pk_f16_f32 v122, v40, v41                            // 000000008DE4: D267007A 00025328
	v_cvt_pk_f16_f32 v123, v42, v43                            // 000000008DEC: D267007B 0002572A
	v_mfma_f32_16x16x32_f16 v[68:71], v[72:75], a[96:99], 0    // 000000008DF4: D3D40044 1202C148
	v_exp_f32_e32 v46, v46                                     // 000000008DFC: 7E5C412E
	v_exp_f32_e32 v47, v47                                     // 000000008E00: 7E5E412F
	v_mfma_f32_16x16x32_f16 v[68:71], v[76:79], a[100:103], v[68:71]// 000000008E04: D3D40044 1512C94C
	v_permlane16_swap_b32_e32 v120, v122                       // 000000008E0C: 7EF0B37A
	v_permlane16_swap_b32_e32 v121, v123                       // 000000008E10: 7EF2B37B
	v_mfma_f32_16x16x32_f16 v[68:71], v[80:83], a[104:107], v[68:71]// 000000008E14: D3D40044 1512D150
	v_cvt_pk_f16_f32 v124, v44, v45                            // 000000008E1C: D267007C 00025B2C
	v_cvt_pk_f16_f32 v125, v46, v47                            // 000000008E24: D267007D 00025F2E
	buffer_atomic_add_f32 v111, v10, s[32:35], 0 offen         // 000000008E2C: E1341000 80086F0A
	v_mfma_f32_16x16x32_f16 v[68:71], v[84:87], a[108:111], v[68:71]// 000000008E34: D3D40044 1512D954
	ds_read_b64_tr_b16 v[240:241], v13 offset:16384            // 000000008E3C: D9C64000 F000000D
	ds_read_b64_tr_b16 v[242:243], v13 offset:16640            // 000000008E44: D9C64100 F200000D
	ds_read_b64_tr_b16 v[244:245], v13 offset:17408            // 000000008E4C: D9C64400 F400000D
	ds_read_b64_tr_b16 v[246:247], v13 offset:17664            // 000000008E54: D9C64500 F600000D
	s_waitcnt lgkmcnt(12)                                      // 000000008E5C: BF8CCC7F
	v_mfma_f32_32x32x16_f16 v[128:143], v[88:91], v[120:123], v[128:143]// 000000008E60: D3D50080 0602F158
	v_subrev_f32_dpp v60, v126, v60 quad_perm:[0,0,0,0] row_mask:0xf bank_mask:0xf// 000000008E68: 067878FA FF00007E
	v_subrev_f32_dpp v61, v126, v61 quad_perm:[1,1,1,1] row_mask:0xf bank_mask:0xf// 000000008E70: 067A7AFA FF00557E
	v_subrev_f32_dpp v62, v126, v62 quad_perm:[2,2,2,2] row_mask:0xf bank_mask:0xf// 000000008E78: 067C7CFA FF00AA7E
	v_subrev_f32_dpp v63, v126, v63 quad_perm:[3,3,3,3] row_mask:0xf bank_mask:0xf// 000000008E80: 067E7EFA FF00FF7E
	v_subrev_f32_dpp v64, v126, v64 quad_perm:[0,0,0,0] row_mask:0xf bank_mask:0xf// 000000008E88: 068080FA FF00007E
	v_subrev_f32_dpp v65, v126, v65 quad_perm:[1,1,1,1] row_mask:0xf bank_mask:0xf// 000000008E90: 068282FA FF00557E
	v_subrev_f32_dpp v66, v126, v66 quad_perm:[2,2,2,2] row_mask:0xf bank_mask:0xf// 000000008E98: 068484FA FF00AA7E
	v_subrev_f32_dpp v67, v126, v67 quad_perm:[3,3,3,3] row_mask:0xf bank_mask:0xf// 000000008EA0: 068686FA FF00FF7E
	v_mul_f32_e32 v60, v36, v60                                // 000000008EA8: 0A787924
	v_mul_f32_e32 v61, v37, v61                                // 000000008EAC: 0A7A7B25
	v_mul_f32_e32 v62, v38, v62                                // 000000008EB0: 0A7C7D26
	v_mul_f32_e32 v63, v39, v63                                // 000000008EB4: 0A7E7F27
	v_mfma_f32_32x32x16_f16 v[144:159], v[92:95], v[120:123], v[144:159]// 000000008EB8: D3D50090 0642F15C
	ds_read_b64_tr_b16 a[0:1], v19                             // 000000008EC0: DBC60000 00000013
	ds_read_b64_tr_b16 a[2:3], v19 offset:256                  // 000000008EC8: DBC60100 02000013
	ds_read_b64_tr_b16 a[4:5], v19 offset:12288                // 000000008ED0: DBC63000 04000013
	ds_read_b64_tr_b16 a[6:7], v19 offset:12544                // 000000008ED8: DBC63100 06000013
	ds_read_b64_tr_b16 a[8:9], v19 offset:24576                // 000000008EE0: DBC66000 08000013
	buffer_atomic_add_f32 v112, v7, s[32:35], 0 offen offset:64// 000000008EE8: E1341040 80087007
	v_mfma_f32_32x32x16_f16 v[160:175], v[96:99], v[120:123], v[160:175]// 000000008EF0: D3D500A0 0682F160
	v_mul_f32_e32 v64, v40, v64                                // 000000008EF8: 0A808128
	v_mul_f32_e32 v65, v41, v65                                // 000000008EFC: 0A828329
	v_mul_f32_e32 v66, v42, v66                                // 000000008F00: 0A84852A
	v_mul_f32_e32 v67, v43, v67                                // 000000008F04: 0A86872B
	v_permlane16_swap_b32_e32 v88, v90                         // 000000008F08: 7EB0B35A
	v_permlane16_swap_b32_e32 v89, v91                         // 000000008F0C: 7EB2B35B
	v_cvt_pk_f16_f32 v60, v60, v61                             // 000000008F10: D267003C 00027B3C
	v_cvt_pk_f16_f32 v61, v62, v63                             // 000000008F18: D267003D 00027F3E
	v_cvt_pk_f16_f32 v62, v64, v65                             // 000000008F20: D267003E 00028340
	v_cvt_pk_f16_f32 v63, v66, v67                             // 000000008F28: D267003F 00028742
	v_permlane16_swap_b32_e32 v92, v94                         // 000000008F30: 7EB8B35E
	v_permlane16_swap_b32_e32 v93, v95                         // 000000008F34: 7EBAB35F
	v_mfma_f32_32x32x16_f16 v[176:191], v[100:103], v[120:123], v[176:191]// 000000008F38: D3D500B0 06C2F164
	ds_read_b64_tr_b16 a[10:11], v19 offset:24832              // 000000008F40: DBC66100 0A000013
	ds_read_b64_tr_b16 a[12:13], v19 offset:36864              // 000000008F48: DBC69000 0C000013
	ds_read_b64_tr_b16 a[14:15], v19 offset:37120              // 000000008F50: DBC69100 0E000013
	ds_read_b64_tr_b16 a[16:17], v19 offset:49152              // 000000008F58: DBC6C000 10000013
	ds_read_b64_tr_b16 a[18:19], v19 offset:49408              // 000000008F60: DBC6C100 12000013
	ds_read_b32 v104, v16 offset:37632                         // 000000008F68: D86C9300 68000010
	v_mfma_f32_16x16x16_f16 v[192:195], v[88:89], v[124:125], v[192:195]// 000000008F70: D3CD00C0 0702F958
	v_permlane16_swap_b32_e32 v96, v98                         // 000000008F78: 7EC0B362
	v_permlane16_swap_b32_e32 v97, v99                         // 000000008F7C: 7EC2B363
	v_subrev_f32_dpp v68, v126, v68 quad_perm:[0,0,0,0] row_mask:0xf bank_mask:0xf// 000000008F80: 068888FA FF00007E
	v_subrev_f32_dpp v69, v126, v69 quad_perm:[1,1,1,1] row_mask:0xf bank_mask:0xf// 000000008F88: 068A8AFA FF00557E
	v_mfma_f32_16x16x16_f16 v[196:199], v[90:91], v[124:125], v[196:199]// 000000008F90: D3CD00C4 0712F95A
	buffer_atomic_add_f32 v113, v8, s[32:35], 0 offen offset:64// 000000008F98: E1341040 80087108
	ds_write_b64 v15, v[60:61] offset:30720                    // 000000008FA0: D89A7800 00003C0F
	ds_write_b64 v15, v[62:63] offset:33024                    // 000000008FA8: D89A8100 00003E0F
	v_mfma_f32_16x16x16_f16 v[200:203], v[92:93], v[124:125], v[200:203]// 000000008FB0: D3CD00C8 0722F95C
	v_permlane16_swap_b32_e32 v100, v102                       // 000000008FB8: 7EC8B366
	v_permlane16_swap_b32_e32 v101, v103                       // 000000008FBC: 7ECAB367
	v_subrev_f32_dpp v70, v126, v70 quad_perm:[2,2,2,2] row_mask:0xf bank_mask:0xf// 000000008FC0: 068C8CFA FF00AA7E
	v_subrev_f32_dpp v71, v126, v71 quad_perm:[3,3,3,3] row_mask:0xf bank_mask:0xf// 000000008FC8: 068E8EFA FF00FF7E
	v_mfma_f32_16x16x16_f16 v[204:207], v[94:95], v[124:125], v[204:207]// 000000008FD0: D3CD00CC 0732F95E
	v_permlane16_swap_b32_e32 v60, v62                         // 000000008FD8: 7E78B33E
	v_permlane16_swap_b32_e32 v61, v63                         // 000000008FDC: 7E7AB33F
	v_mfma_f32_16x16x16_f16 v[208:211], v[96:97], v[124:125], v[208:211]// 000000008FE0: D3CD00D0 0742F960
	v_mul_f32_e32 v68, v44, v68                                // 000000008FE8: 0A88892C
	v_mul_f32_e32 v69, v45, v69                                // 000000008FEC: 0A8A8B2D
	v_mul_f32_e32 v70, v46, v70                                // 000000008FF0: 0A8C8D2E
	v_mfma_f32_16x16x16_f16 v[212:215], v[98:99], v[124:125], v[212:215]// 000000008FF4: D3CD00D4 0752F962
	ds_read_b64_tr_b16 a[20:21], v19 offset:61440              // 000000008FFC: DBC6F000 14000013
	ds_read_b64_tr_b16 a[22:23], v19 offset:61696              // 000000009004: DBC6F100 16000013
	ds_read_b64_tr_b16 a[24:25], v20                           // 00000000900C: DBC60000 18000014
	v_mfma_f32_16x16x16_f16 v[216:219], v[100:101], v[124:125], v[216:219]// 000000009014: D3CD00D8 0762F964
	v_mul_f32_e32 v71, v47, v71                                // 00000000901C: 0A8E8F2F
	v_cvt_pk_f16_f32 v64, v68, v69                             // 000000009020: D2670040 00028B44
	v_cvt_pk_f16_f32 v65, v70, v71                             // 000000009028: D2670041 00028F46
	v_mfma_f32_16x16x16_f16 v[220:223], v[102:103], v[124:125], v[220:223]// 000000009030: D3CD00DC 0772F966
	ds_read_b32 v126, v16 offset:37888                         // 000000009038: D86C9400 7E000010
	ds_read_b64_tr_b16 a[26:27], v20 offset:256                // 000000009040: DBC60100 1A000014
	ds_read_b64_tr_b16 a[28:29], v20 offset:12288              // 000000009048: DBC63000 1C000014
	s_waitcnt lgkmcnt(8)                                       // 000000009050: BF8CC87F
	v_mfma_f32_32x32x16_f16 a[112:127], v[224:227], v[60:63], a[112:127]// 000000009054: D3D58070 05C279E0
	v_mul_f32_e32 v104, s48, v104                              // 00000000905C: 0AD0D030
	buffer_atomic_add_f32 v114, v9, s[32:35], 0 offen offset:64// 000000009060: E1341040 80087209
	v_mfma_f32_32x32x16_f16 a[128:143], v[228:231], v[60:63], a[128:143]// 000000009068: D3D58080 060279E4
	ds_read_b64_tr_b16 a[30:31], v20 offset:12544              // 000000009070: DBC63100 1E000014
	ds_write_b64 v15, v[64:65] offset:35328                    // 000000009078: D89A8A00 0000400F
	ds_read_b64_tr_b16 a[32:33], v20 offset:24576              // 000000009080: DBC66000 20000014
	ds_read_b64_tr_b16 a[34:35], v20 offset:24832              // 000000009088: DBC66100 22000014
	v_mfma_f32_32x32x16_f16 a[144:159], v[232:235], v[60:63], a[144:159]// 000000009090: D3D58090 064279E8
	.long 0x7fc0b3e2                                           // 000000009098: 7FC0B3E2
	.long 0x7fc2b3e3                                           // 00000000909C: 7FC2B3E3
	buffer_atomic_add_f32 v115, v10, s[32:35], 0 offen offset:64// 0000000090A0: E1341040 8008730A
	v_mfma_f32_32x32x16_f16 a[160:175], v[236:239], v[60:63], a[160:175]// 0000000090A8: D3D580A0 068279EC
	ds_read_b64_tr_b16 a[36:37], v20 offset:36864              // 0000000090B0: DBC69000 24000014
	ds_read_b64_tr_b16 a[38:39], v20 offset:37120              // 0000000090B8: DBC69100 26000014
	ds_read_b64_tr_b16 a[40:41], v20 offset:49152              // 0000000090C0: DBC6C000 28000014
	ds_read_b64_tr_b16 a[42:43], v20 offset:49408              // 0000000090C8: DBC6C100 2A000014
	ds_read_b64_tr_b16 a[44:45], v20 offset:61440              // 0000000090D0: DBC6F000 2C000014
	ds_read_b64_tr_b16 a[46:47], v20 offset:61696              // 0000000090D8: DBC6F100 2E000014
	s_waitcnt lgkmcnt(8)                                       // 0000000090E0: BF8CC87F
	s_barrier                                                  // 0000000090E4: BF8A0000
	v_mfma_f32_32x32x16_f16 a[176:191], v[240:243], v[60:63], a[176:191]// 0000000090E8: D3D580B0 06C279F0
	.long 0x7fc8b3e6                                           // 0000000090F0: 7FC8B3E6
	.long 0x7fcab3e7                                           // 0000000090F4: 7FCAB3E7
	v_mov_b32_dpp v107, v104 quad_perm:[3,3,3,3] row_mask:0xf bank_mask:0xf// 0000000090F8: 7ED602FA FF00FF68
	v_mov_b32_dpp v106, v104 quad_perm:[2,2,2,2] row_mask:0xf bank_mask:0xf// 000000009100: 7ED402FA FF00AA68
	buffer_atomic_add_f32 v116, v7, s[32:35], 0 offen offset:128// 000000009108: E1341080 80087407
	v_mfma_f32_32x32x16_f16 a[192:207], v[244:247], v[60:63], a[192:207]// 000000009110: D3D580C0 070279F4
	ds_read_b64_tr_b16 v[36:37], v14 offset:30720              // 000000009118: D9C67800 2400000E
	ds_read_b64_tr_b16 v[38:39], v14 offset:30752              // 000000009120: D9C67820 2600000E
	ds_read_b64_tr_b16 v[40:41], v14 offset:31872              // 000000009128: D9C67C80 2800000E
	ds_read_b64_tr_b16 v[42:43], v14 offset:31904              // 000000009130: D9C67CA0 2A00000E
	ds_read_b64_tr_b16 v[44:45], v14 offset:33024              // 000000009138: D9C68100 2C00000E
	ds_read_b64_tr_b16 v[46:47], v14 offset:33056              // 000000009140: D9C68120 2E00000E
	v_mfma_f32_16x16x16_f16 a[208:211], v[224:225], v[64:65], a[208:211]// 000000009148: D3CD80D0 074281E0
	.long 0x7fd0b3ea                                           // 000000009150: 7FD0B3EA
	.long 0x7fd2b3eb                                           // 000000009154: 7FD2B3EB
	v_mfma_f32_16x16x16_f16 a[212:215], v[226:227], v[64:65], a[212:215]// 000000009158: D3CD80D4 075281E2
	ds_read_b64_tr_b16 v[48:49], v14 offset:34176              // 000000009160: D9C68580 3000000E
	ds_read_b64_tr_b16 v[50:51], v14 offset:34208              // 000000009168: D9C685A0 3200000E
	ds_read_b64_tr_b16 v[52:53], v14 offset:35328              // 000000009170: D9C68A00 3400000E
	v_mfma_f32_16x16x16_f16 a[216:219], v[228:229], v[64:65], a[216:219]// 000000009178: D3CD80D8 076281E4
	v_permlane16_swap_b32_e32 v236, v238                       // 000000009180: 7FD8B3EE
	v_permlane16_swap_b32_e32 v237, v239                       // 000000009184: 7FDAB3EF
	buffer_atomic_add_f32 v117, v8, s[32:35], 0 offen offset:128// 000000009188: E1341080 80087508
	v_mfma_f32_16x16x16_f16 a[220:223], v[230:231], v[64:65], a[220:223]// 000000009190: D3CD80DC 077281E6
	ds_read_b64_tr_b16 v[54:55], v14 offset:35360              // 000000009198: D9C68A20 3600000E
	ds_read_b64_tr_b16 v[56:57], v14 offset:36480              // 0000000091A0: D9C68E80 3800000E
	ds_read_b64_tr_b16 v[58:59], v14 offset:36512              // 0000000091A8: D9C68EA0 3A00000E
	v_mfma_f32_16x16x16_f16 a[224:227], v[232:233], v[64:65], a[224:227]// 0000000091B0: D3CD80E0 078281E8
	v_permlane16_swap_b32_e32 v240, v242                       // 0000000091B8: 7FE0B3F2
	v_permlane16_swap_b32_e32 v241, v243                       // 0000000091BC: 7FE2B3F3
	v_mfma_f32_16x16x16_f16 a[228:231], v[234:235], v[64:65], a[228:231]// 0000000091C0: D3CD80E4 079281EA
	ds_read_b64_tr_b16 a[48:49], v21                           // 0000000091C8: DBC60000 30000015
	ds_read_b64_tr_b16 a[50:51], v21 offset:256                // 0000000091D0: DBC60100 32000015
	ds_read_b64_tr_b16 a[52:53], v21 offset:12288              // 0000000091D8: DBC63000 34000015
	v_mfma_f32_16x16x16_f16 a[232:235], v[236:237], v[64:65], a[232:235]// 0000000091E0: D3CD80E8 07A281EC
	v_permlane16_swap_b32_e32 v244, v246                       // 0000000091E8: 7FE8B3F6
	v_permlane16_swap_b32_e32 v245, v247                       // 0000000091EC: 7FEAB3F7
	v_mfma_f32_16x16x16_f16 a[236:239], v[238:239], v[64:65], a[236:239]// 0000000091F0: D3CD80EC 07B281EE
	ds_read_b64_tr_b16 a[54:55], v21 offset:12544              // 0000000091F8: DBC63100 36000015
	ds_read_b64_tr_b16 a[56:57], v21 offset:24576              // 000000009200: DBC66000 38000015
	ds_read_b64_tr_b16 a[58:59], v21 offset:24832              // 000000009208: DBC66100 3A000015
	v_mfma_f32_16x16x16_f16 a[240:243], v[240:241], v[64:65], a[240:243]// 000000009210: D3CD80F0 07C281F0
	v_mov_b32_dpp v105, v104 quad_perm:[1,1,1,1] row_mask:0xf bank_mask:0xf// 000000009218: 7ED202FA FF005568
	buffer_atomic_add_f32 v118, v9, s[32:35], 0 offen offset:128// 000000009220: E1341080 80087609
	v_mfma_f32_16x16x16_f16 a[244:247], v[242:243], v[64:65], a[244:247]// 000000009228: D3CD80F4 07D281F2
	ds_read_b64_tr_b16 a[60:61], v21 offset:36864              // 000000009230: DBC69000 3C000015
	ds_read_b64_tr_b16 a[62:63], v21 offset:37120              // 000000009238: DBC69100 3E000015
	ds_read_b64_tr_b16 v[248:249], v21 offset:49152            // 000000009240: D9C6C000 F8000015
	v_mfma_f32_16x16x16_f16 a[248:251], v[244:245], v[64:65], a[248:251]// 000000009248: D3CD80F8 07E281F4
	v_mov_b32_dpp v104, v104 quad_perm:[0,0,0,0] row_mask:0xf bank_mask:0xf// 000000009250: 7ED002FA FF000068
	buffer_atomic_add_f32 v119, v10, s[32:35], 0 offen offset:128// 000000009258: E1341080 8008770A
	v_mfma_f32_16x16x16_f16 a[252:255], v[246:247], v[64:65], a[252:255]// 000000009260: D3CD80FC 07F281F6
	ds_read_b64_tr_b16 v[250:251], v21 offset:49408            // 000000009268: D9C6C100 FA000015
	ds_read_b64_tr_b16 v[252:253], v21 offset:61440            // 000000009270: D9C6F000 FC000015
	ds_read_b64_tr_b16 v[254:255], v21 offset:61696            // 000000009278: D9C6F100 FE000015
	s_waitcnt vmcnt(12) lgkmcnt(6)                             // 000000009280: BF8C067C
	s_barrier                                                  // 000000009284: BF8A0000
	v_mfma_f32_16x16x32_f16 v[108:111], v[36:39], a[0:3], 0    // 000000009288: D3D4006C 12020124
	s_mov_b32 m0, s83                                          // 000000009290: BEFC0053
	buffer_load_dwordx4 v1, s[8:11], 0 idxen lds               // 000000009294: E05D2000 80020001
	v_mfma_f32_16x16x32_f16 v[108:111], v[40:43], a[4:7], v[108:111]// 00000000929C: D3D4006C 15B20928
	ds_read_b128 v[224:227], v12                               // 0000000092A4: D9FE0000 E000000C
	ds_read_b128 v[228:231], v12 offset:1024                   // 0000000092AC: D9FE0400 E400000C
	v_mfma_f32_16x16x32_f16 v[108:111], v[44:47], a[8:11], v[108:111]// 0000000092B4: D3D4006C 15B2112C
	s_mov_b32 m0, s84                                          // 0000000092BC: BEFC0054
	buffer_load_dword v2, s[8:11], 0 idxen lds                 // 0000000092C0: E0512000 80020002
	v_mfma_f32_16x16x32_f16 v[108:111], v[48:51], a[12:15], v[108:111]// 0000000092C8: D3D4006C 15B21930
	ds_read_b128 v[232:235], v12 offset:2048                   // 0000000092D0: D9FE0800 E800000C
	ds_read_b128 v[236:239], v12 offset:3072                   // 0000000092D8: D9FE0C00 EC00000C
	v_mfma_f32_16x16x32_f16 v[108:111], v[52:55], a[16:19], v[108:111]// 0000000092E0: D3D4006C 15B22134
	s_mov_b32 m0, s85                                          // 0000000092E8: BEFC0055
	buffer_load_dword v3, s[8:11], 0 idxen lds                 // 0000000092EC: E0512000 80020003
	v_mfma_f32_16x16x32_f16 v[108:111], v[56:59], a[20:23], v[108:111]// 0000000092F4: D3D4006C 15B22938
	ds_read_b128 v[240:243], v12 offset:4096                   // 0000000092FC: D9FE1000 F000000C
	ds_read_b128 v[244:247], v12 offset:5120                   // 000000009304: D9FE1400 F400000C
	v_mfma_f32_16x16x32_f16 v[112:115], v[36:39], a[24:27], 0  // 00000000930C: D3D40070 12023124
	s_mov_b32 m0, s88                                          // 000000009314: BEFC0058
	buffer_load_dwordx4 v4, s[20:23], 0 idxen lds              // 000000009318: E05D2000 80050004
	v_mfma_f32_16x16x32_f16 v[112:115], v[40:43], a[28:31], v[112:115]// 000000009320: D3D40070 15C23928
	ds_read_b128 a[0:3], v17                                   // 000000009328: DBFE0000 00000011
	ds_read_b128 a[4:7], v17 offset:1024                       // 000000009330: DBFE0400 04000011
	v_mfma_f32_16x16x32_f16 v[112:115], v[44:47], a[32:35], v[112:115]// 000000009338: D3D40070 15C2412C
	v_mul_f32_e32 v108, s47, v108                              // 000000009340: 0AD8D82F
	v_mul_f32_e32 v109, s47, v109                              // 000000009344: 0ADADA2F
	s_mov_b32 m0, s76                                          // 000000009348: BEFC004C
	buffer_load_dword v11, s[24:27], 0 idxen lds               // 00000000934C: E0512000 8006000B
	v_mfma_f32_16x16x32_f16 v[112:115], v[48:51], a[36:39], v[112:115]// 000000009354: D3D40070 15C24930
	ds_read_b128 a[8:11], v17 offset:2048                      // 00000000935C: DBFE0800 08000011
	ds_read_b128 a[12:15], v17 offset:3072                     // 000000009364: DBFE0C00 0C000011
	v_mfma_f32_16x16x32_f16 v[112:115], v[52:55], a[40:43], v[112:115]// 00000000936C: D3D40070 15C25134
	s_add_u32 s60, 64, s59                                     // 000000009374: 803C3BC0
	s_cmp_lt_u32 s60, s58                                      // 000000009378: BF0A3A3C
	s_cselect_b32 s68, s68, 0                                  // 00000000937C: 85448044
	s_cselect_b32 s97, s97, 0                                  // 000000009380: 85618061
	s_cselect_b32 s69, s69, 0                                  // 000000009384: 85458045
	v_mfma_f32_16x16x32_f16 v[112:115], v[56:59], a[44:47], v[112:115]// 000000009388: D3D40070 15C25938
	ds_read_b128 a[16:19], v17 offset:4096                     // 000000009390: DBFE1000 10000011
	ds_read_b128 a[20:23], v17 offset:5120                     // 000000009398: DBFE1400 14000011
	v_mfma_f32_16x16x32_f16 v[116:119], v[36:39], a[48:51], 0  // 0000000093A0: D3D40074 12026124
	v_add_u32_e32 v1, s68, v1                                  // 0000000093A8: 68020244
	v_add_u32_e32 v2, s68, v2                                  // 0000000093AC: 68040444
	v_add_u32_e32 v3, s68, v3                                  // 0000000093B0: 68060644
	v_add_u32_e32 v4, s97, v4                                  // 0000000093B4: 68080861
	v_add_u32_e32 v11, s69, v11                                // 0000000093B8: 68161645
	v_mfma_f32_16x16x32_f16 v[116:119], v[40:43], a[52:55], v[116:119]// 0000000093BC: D3D40074 15D26928
	ds_read_b128 a[24:27], v17 offset:24576                    // 0000000093C4: DBFE6000 18000011
	ds_read_b128 a[28:31], v17 offset:25600                    // 0000000093CC: DBFE6400 1C000011
	s_waitcnt lgkmcnt(14)                                      // 0000000093D4: BF8CCE7F
	v_mfma_f32_16x16x32_f16 v[116:119], v[44:47], a[56:59], v[116:119]// 0000000093D8: D3D40074 15D2712C
	v_mul_f32_e32 v110, s47, v110                              // 0000000093E0: 0ADCDC2F
	v_mul_f32_e32 v111, s47, v111                              // 0000000093E4: 0ADEDE2F
	s_cmp_ge_u32 s59, 16                                       // 0000000093E8: BF09903B
	s_cselect_b32 s66, s67, s66                                // 0000000093EC: 85424243
	v_mfma_f32_16x16x32_f16 v[116:119], v[48:51], a[60:63], v[116:119]// 0000000093F0: D3D40074 15D27930
	ds_read_b128 a[32:35], v17 offset:26624                    // 0000000093F8: DBFE6800 20000011
	ds_read_b128 a[36:39], v17 offset:27648                    // 000000009400: DBFE6C00 24000011
	v_mfma_f32_16x16x32_f16 v[116:119], v[52:55], v[248:251], v[116:119]// 000000009408: D3D40074 05D3F134
	s_addk_i32 s59, 0x10                                       // 000000009410: B73B0010
	v_mul_f32_e32 v112, s47, v112                              // 000000009414: 0AE0E02F
	v_mul_f32_e32 v113, s47, v113                              // 000000009418: 0AE2E22F
	s_cmp_lt_i32 s59, s58                                      // 00000000941C: BF043A3B
	v_mfma_f32_16x16x32_f16 v[116:119], v[56:59], v[252:255], v[116:119]// 000000009420: D3D40074 05D3F938
	ds_read_b128 a[40:43], v17 offset:28672                    // 000000009428: DBFE7000 28000011
	ds_read_b128 a[44:47], v17 offset:29696                    // 000000009430: DBFE7400 2C000011
	s_cbranch_scc0 label_0D7D                                  // 000000009438: BF84F85F
	s_branch label_0D80                                        // 00000000943C: BF82F861

0000000000009440 <label_152E>:
	v_lshlrev_b32_e32 v24, 1, v0                               // 000000009440: 24300081
	s_mul_i32 s60, s46, 0xcc0                                  // 000000009444: 923CFF2E 00000CC0
	v_add_u32_e32 v24, s60, v24                                // 00000000944C: 6830303C
	v_lshlrev_b32_e32 v24, 2, v24                              // 000000009450: 24303082
	v_lshlrev_b32_e32 v25, 1, v0                               // 000000009454: 24320081
	v_lshrrev_b32_e32 v32, 5, v0                               // 000000009458: 20400085
	v_mul_i32_i24_e32 v32, 8, v32                              // 00000000945C: 0C404088
	v_add_u32_e32 v25, v32, v25                                // 000000009460: 68323320
	s_mul_i32 s60, s46, 0x6c0                                  // 000000009464: 923CFF2E 000006C0
	v_add_u32_e32 v25, s60, v25                                // 00000000946C: 6832323C
	v_lshlrev_b32_e32 v25, 2, v25                              // 000000009470: 24323282
	v_mul_f32_e32 v114, s47, v114                              // 000000009474: 0AE4E42F
	v_mul_f32_e32 v115, s47, v115                              // 000000009478: 0AE6E62F
	v_mul_f32_e32 v116, s47, v116                              // 00000000947C: 0AE8E82F
	v_mul_f32_e32 v117, s47, v117                              // 000000009480: 0AEAEA2F
	v_mul_f32_e32 v118, s47, v118                              // 000000009484: 0AECEC2F
	v_mul_f32_e32 v119, s47, v119                              // 000000009488: 0AEEEE2F
	v_add_u32_e32 v7, s66, v7                                  // 00000000948C: 680E0E42
	v_add_u32_e32 v8, s66, v8                                  // 000000009490: 68101042
	v_add_u32_e32 v9, s66, v9                                  // 000000009494: 68121242
	v_add_u32_e32 v10, s66, v10                                // 000000009498: 68141442
	buffer_atomic_add_f32 v108, v7, s[32:35], 0 offen          // 00000000949C: E1341000 80086C07
	buffer_atomic_add_f32 v109, v8, s[32:35], 0 offen          // 0000000094A4: E1341000 80086D08
	buffer_atomic_add_f32 v110, v9, s[32:35], 0 offen          // 0000000094AC: E1341000 80086E09
	buffer_atomic_add_f32 v111, v10, s[32:35], 0 offen         // 0000000094B4: E1341000 80086F0A
	buffer_atomic_add_f32 v112, v7, s[32:35], 0 offen offset:64// 0000000094BC: E1341040 80087007
	buffer_atomic_add_f32 v113, v8, s[32:35], 0 offen offset:64// 0000000094C4: E1341040 80087108
	buffer_atomic_add_f32 v114, v9, s[32:35], 0 offen offset:64// 0000000094CC: E1341040 80087209
	buffer_atomic_add_f32 v115, v10, s[32:35], 0 offen offset:64// 0000000094D4: E1341040 8008730A
	buffer_atomic_add_f32 v116, v7, s[32:35], 0 offen offset:128// 0000000094DC: E1341080 80087407
	buffer_atomic_add_f32 v117, v8, s[32:35], 0 offen offset:128// 0000000094E4: E1341080 80087508
	buffer_atomic_add_f32 v118, v9, s[32:35], 0 offen offset:128// 0000000094EC: E1341080 80087609
	buffer_atomic_add_f32 v119, v10, s[32:35], 0 offen offset:128// 0000000094F4: E1341080 8008770A
	v_lshrrev_b32_e32 v32, 3, v0                               // 0000000094FC: 20400083
	v_mul_i32_i24_e32 v22, 2, v32                              // 000000009500: 0C2C4082
	v_and_b32_e32 v32, 7, v0                                   // 000000009504: 26400087
	v_mul_i32_i24_e32 v33, 0x88, v32                           // 000000009508: 0C4240FF 00000088
	v_add_u32_e32 v22, v33, v22                                // 000000009510: 682C2D21
	s_mul_i32 s60, s46, 0xcc0                                  // 000000009514: 923CFF2E 00000CC0
	v_add_u32_e32 v22, s60, v22                                // 00000000951C: 682C2C3C
	v_lshlrev_b32_e32 v22, 2, v22                              // 000000009520: 242C2C82
	v_lshrrev_b32_e32 v32, 3, v0                               // 000000009524: 20400083
	v_mul_i32_i24_e32 v23, 2, v32                              // 000000009528: 0C2E4082
	v_and_b32_e32 v32, 7, v0                                   // 00000000952C: 26400087
	v_mul_i32_i24_e32 v33, 0x48, v32                           // 000000009530: 0C4240FF 00000048
	v_add_u32_e32 v23, v33, v23                                // 000000009538: 682E2F21
	s_mul_i32 s60, s46, 0x6c0                                  // 00000000953C: 923CFF2E 000006C0
	v_add_u32_e32 v23, s60, v23                                // 000000009544: 682E2E3C
	v_lshlrev_b32_e32 v23, 2, v23                              // 000000009548: 242E2E82
	s_waitcnt vmcnt(0) expcnt(0) lgkmcnt(0)                    // 00000000954C: BF8C0000
	s_barrier                                                  // 000000009550: BF8A0000
	v_mov_b32_e32 v34, v128                                    // 000000009554: 7E440380
	v_mov_b32_e32 v35, v129                                    // 000000009558: 7E460381
	v_cvt_pk_f16_f32 v128, v34, v35                            // 00000000955C: D2670080 00024722
	v_mov_b32_e32 v34, v130                                    // 000000009564: 7E440382
	v_mov_b32_e32 v35, v131                                    // 000000009568: 7E460383
	v_cvt_pk_f16_f32 v129, v34, v35                            // 00000000956C: D2670081 00024722
	v_mov_b32_e32 v34, v132                                    // 000000009574: 7E440384
	v_mov_b32_e32 v35, v133                                    // 000000009578: 7E460385
	v_cvt_pk_f16_f32 v130, v34, v35                            // 00000000957C: D2670082 00024722
	v_mov_b32_e32 v34, v134                                    // 000000009584: 7E440386
	v_mov_b32_e32 v35, v135                                    // 000000009588: 7E460387
	v_cvt_pk_f16_f32 v131, v34, v35                            // 00000000958C: D2670083 00024722
	v_mov_b32_e32 v34, v136                                    // 000000009594: 7E440388
	v_mov_b32_e32 v35, v137                                    // 000000009598: 7E460389
	v_cvt_pk_f16_f32 v132, v34, v35                            // 00000000959C: D2670084 00024722
	v_mov_b32_e32 v34, v138                                    // 0000000095A4: 7E44038A
	v_mov_b32_e32 v35, v139                                    // 0000000095A8: 7E46038B
	v_cvt_pk_f16_f32 v133, v34, v35                            // 0000000095AC: D2670085 00024722
	v_mov_b32_e32 v34, v140                                    // 0000000095B4: 7E44038C
	v_mov_b32_e32 v35, v141                                    // 0000000095B8: 7E46038D
	v_cvt_pk_f16_f32 v134, v34, v35                            // 0000000095BC: D2670086 00024722
	v_mov_b32_e32 v34, v142                                    // 0000000095C4: 7E44038E
	v_mov_b32_e32 v35, v143                                    // 0000000095C8: 7E46038F
	v_cvt_pk_f16_f32 v135, v34, v35                            // 0000000095CC: D2670087 00024722
	v_mov_b32_e32 v34, v144                                    // 0000000095D4: 7E440390
	v_mov_b32_e32 v35, v145                                    // 0000000095D8: 7E460391
	v_cvt_pk_f16_f32 v136, v34, v35                            // 0000000095DC: D2670088 00024722
	v_mov_b32_e32 v34, v146                                    // 0000000095E4: 7E440392
	v_mov_b32_e32 v35, v147                                    // 0000000095E8: 7E460393
	v_cvt_pk_f16_f32 v137, v34, v35                            // 0000000095EC: D2670089 00024722
	v_mov_b32_e32 v34, v148                                    // 0000000095F4: 7E440394
	v_mov_b32_e32 v35, v149                                    // 0000000095F8: 7E460395
	v_cvt_pk_f16_f32 v138, v34, v35                            // 0000000095FC: D267008A 00024722
	v_mov_b32_e32 v34, v150                                    // 000000009604: 7E440396
	v_mov_b32_e32 v35, v151                                    // 000000009608: 7E460397
	v_cvt_pk_f16_f32 v139, v34, v35                            // 00000000960C: D267008B 00024722
	v_mov_b32_e32 v34, v152                                    // 000000009614: 7E440398
	v_mov_b32_e32 v35, v153                                    // 000000009618: 7E460399
	v_cvt_pk_f16_f32 v140, v34, v35                            // 00000000961C: D267008C 00024722
	v_mov_b32_e32 v34, v154                                    // 000000009624: 7E44039A
	v_mov_b32_e32 v35, v155                                    // 000000009628: 7E46039B
	v_cvt_pk_f16_f32 v141, v34, v35                            // 00000000962C: D267008D 00024722
	v_mov_b32_e32 v34, v156                                    // 000000009634: 7E44039C
	v_mov_b32_e32 v35, v157                                    // 000000009638: 7E46039D
	v_cvt_pk_f16_f32 v142, v34, v35                            // 00000000963C: D267008E 00024722
	v_mov_b32_e32 v34, v158                                    // 000000009644: 7E44039E
	v_mov_b32_e32 v35, v159                                    // 000000009648: 7E46039F
	v_cvt_pk_f16_f32 v143, v34, v35                            // 00000000964C: D267008F 00024722
	v_mov_b32_e32 v34, v160                                    // 000000009654: 7E4403A0
	v_mov_b32_e32 v35, v161                                    // 000000009658: 7E4603A1
	v_cvt_pk_f16_f32 v144, v34, v35                            // 00000000965C: D2670090 00024722
	v_mov_b32_e32 v34, v162                                    // 000000009664: 7E4403A2
	v_mov_b32_e32 v35, v163                                    // 000000009668: 7E4603A3
	v_cvt_pk_f16_f32 v145, v34, v35                            // 00000000966C: D2670091 00024722
	v_mov_b32_e32 v34, v164                                    // 000000009674: 7E4403A4
	v_mov_b32_e32 v35, v165                                    // 000000009678: 7E4603A5
	v_cvt_pk_f16_f32 v146, v34, v35                            // 00000000967C: D2670092 00024722
	v_mov_b32_e32 v34, v166                                    // 000000009684: 7E4403A6
	v_mov_b32_e32 v35, v167                                    // 000000009688: 7E4603A7
	v_cvt_pk_f16_f32 v147, v34, v35                            // 00000000968C: D2670093 00024722
	v_mov_b32_e32 v34, v168                                    // 000000009694: 7E4403A8
	v_mov_b32_e32 v35, v169                                    // 000000009698: 7E4603A9
	v_cvt_pk_f16_f32 v148, v34, v35                            // 00000000969C: D2670094 00024722
	v_mov_b32_e32 v34, v170                                    // 0000000096A4: 7E4403AA
	v_mov_b32_e32 v35, v171                                    // 0000000096A8: 7E4603AB
	v_cvt_pk_f16_f32 v149, v34, v35                            // 0000000096AC: D2670095 00024722
	v_mov_b32_e32 v34, v172                                    // 0000000096B4: 7E4403AC
	v_mov_b32_e32 v35, v173                                    // 0000000096B8: 7E4603AD
	v_cvt_pk_f16_f32 v150, v34, v35                            // 0000000096BC: D2670096 00024722
	v_mov_b32_e32 v34, v174                                    // 0000000096C4: 7E4403AE
	v_mov_b32_e32 v35, v175                                    // 0000000096C8: 7E4603AF
	v_cvt_pk_f16_f32 v151, v34, v35                            // 0000000096CC: D2670097 00024722
	v_mov_b32_e32 v34, v176                                    // 0000000096D4: 7E4403B0
	v_mov_b32_e32 v35, v177                                    // 0000000096D8: 7E4603B1
	v_cvt_pk_f16_f32 v152, v34, v35                            // 0000000096DC: D2670098 00024722
	v_mov_b32_e32 v34, v178                                    // 0000000096E4: 7E4403B2
	v_mov_b32_e32 v35, v179                                    // 0000000096E8: 7E4603B3
	v_cvt_pk_f16_f32 v153, v34, v35                            // 0000000096EC: D2670099 00024722
	v_mov_b32_e32 v34, v180                                    // 0000000096F4: 7E4403B4
	v_mov_b32_e32 v35, v181                                    // 0000000096F8: 7E4603B5
	v_cvt_pk_f16_f32 v154, v34, v35                            // 0000000096FC: D267009A 00024722
	v_mov_b32_e32 v34, v182                                    // 000000009704: 7E4403B6
	v_mov_b32_e32 v35, v183                                    // 000000009708: 7E4603B7
	v_cvt_pk_f16_f32 v155, v34, v35                            // 00000000970C: D267009B 00024722
	v_mov_b32_e32 v34, v184                                    // 000000009714: 7E4403B8
	v_mov_b32_e32 v35, v185                                    // 000000009718: 7E4603B9
	v_cvt_pk_f16_f32 v156, v34, v35                            // 00000000971C: D267009C 00024722
	v_mov_b32_e32 v34, v186                                    // 000000009724: 7E4403BA
	v_mov_b32_e32 v35, v187                                    // 000000009728: 7E4603BB
	v_cvt_pk_f16_f32 v157, v34, v35                            // 00000000972C: D267009D 00024722
	v_mov_b32_e32 v34, v188                                    // 000000009734: 7E4403BC
	v_mov_b32_e32 v35, v189                                    // 000000009738: 7E4603BD
	v_cvt_pk_f16_f32 v158, v34, v35                            // 00000000973C: D267009E 00024722
	v_mov_b32_e32 v34, v190                                    // 000000009744: 7E4403BE
	v_mov_b32_e32 v35, v191                                    // 000000009748: 7E4603BF
	v_cvt_pk_f16_f32 v159, v34, v35                            // 00000000974C: D267009F 00024722
	ds_write_b64 v24, v[128:129]                               // 000000009754: D89A0000 00008018
	ds_write_b64 v24, v[130:131] offset:544                    // 00000000975C: D89A0220 00008218
	ds_write_b64 v24, v[132:133] offset:1088                   // 000000009764: D89A0440 00008418
	ds_write_b64 v24, v[134:135] offset:1632                   // 00000000976C: D89A0660 00008618
	ds_write_b64 v24, v[136:137] offset:2176                   // 000000009774: D89A0880 00008818
	ds_write_b64 v24, v[138:139] offset:2720                   // 00000000977C: D89A0AA0 00008A18
	ds_write_b64 v24, v[140:141] offset:3264                   // 000000009784: D89A0CC0 00008C18
	ds_write_b64 v24, v[142:143] offset:3808                   // 00000000978C: D89A0EE0 00008E18
	ds_write_b64 v24, v[144:145] offset:4352                   // 000000009794: D89A1100 00009018
	ds_write_b64 v24, v[146:147] offset:4896                   // 00000000979C: D89A1320 00009218
	ds_write_b64 v24, v[148:149] offset:5440                   // 0000000097A4: D89A1540 00009418
	ds_write_b64 v24, v[150:151] offset:5984                   // 0000000097AC: D89A1760 00009618
	ds_write_b64 v24, v[152:153] offset:6528                   // 0000000097B4: D89A1980 00009818
	ds_write_b64 v24, v[154:155] offset:7072                   // 0000000097BC: D89A1BA0 00009A18
	ds_write_b64 v24, v[156:157] offset:7616                   // 0000000097C4: D89A1DC0 00009C18
	ds_write_b64 v24, v[158:159] offset:8160                   // 0000000097CC: D89A1FE0 00009E18
	s_waitcnt lgkmcnt(0)                                       // 0000000097D4: BF8CC07F
	s_barrier                                                  // 0000000097D8: BF8A0000
	ds_read_b64 v[128:129], v22                                // 0000000097DC: D8EC0000 80000016
	ds_read_b64 v[130:131], v22 offset:256                     // 0000000097E4: D8EC0100 82000016
	ds_read_b64 v[132:133], v22 offset:4352                    // 0000000097EC: D8EC1100 84000016
	ds_read_b64 v[134:135], v22 offset:4608                    // 0000000097F4: D8EC1200 86000016
	ds_read_b64 v[136:137], v22 offset:64                      // 0000000097FC: D8EC0040 88000016
	ds_read_b64 v[138:139], v22 offset:320                     // 000000009804: D8EC0140 8A000016
	ds_read_b64 v[140:141], v22 offset:4416                    // 00000000980C: D8EC1140 8C000016
	ds_read_b64 v[142:143], v22 offset:4672                    // 000000009814: D8EC1240 8E000016
	ds_read_b64 v[144:145], v22 offset:128                     // 00000000981C: D8EC0080 90000016
	ds_read_b64 v[146:147], v22 offset:384                     // 000000009824: D8EC0180 92000016
	ds_read_b64 v[148:149], v22 offset:4480                    // 00000000982C: D8EC1180 94000016
	ds_read_b64 v[150:151], v22 offset:4736                    // 000000009834: D8EC1280 96000016
	ds_read_b64 v[152:153], v22 offset:192                     // 00000000983C: D8EC00C0 98000016
	ds_read_b64 v[154:155], v22 offset:448                     // 000000009844: D8EC01C0 9A000016
	ds_read_b64 v[156:157], v22 offset:4544                    // 00000000984C: D8EC11C0 9C000016
	ds_read_b64 v[158:159], v22 offset:4800                    // 000000009854: D8EC12C0 9E000016
	s_waitcnt lgkmcnt(0)                                       // 00000000985C: BF8CC07F
	s_mov_b32 s70, s53                                         // 000000009860: BEC60035
	buffer_store_dwordx4 v[128:131], v6, s[40:43], 0 offen     // 000000009864: E07C1000 800A8006
	buffer_store_dwordx4 v[132:135], v6, s[40:43], 0 offen offset:128// 00000000986C: E07C1080 800A8406
	s_mul_i32 s60, 8, s70                                      // 000000009874: 923C4688
	v_add_u32_e32 v6, s60, v6                                  // 000000009878: 680C0C3C
	buffer_store_dwordx4 v[136:139], v6, s[40:43], 0 offen     // 00000000987C: E07C1000 800A8806
	buffer_store_dwordx4 v[140:143], v6, s[40:43], 0 offen offset:128// 000000009884: E07C1080 800A8C06
	s_mul_i32 s60, 8, s70                                      // 00000000988C: 923C4688
	v_add_u32_e32 v6, s60, v6                                  // 000000009890: 680C0C3C
	s_mul_i32 s60, 48, s70                                     // 000000009894: 923C46B0
	v_add_u32_e32 v6, s60, v6                                  // 000000009898: 680C0C3C
	buffer_store_dwordx4 v[144:147], v6, s[40:43], 0 offen     // 00000000989C: E07C1000 800A9006
	buffer_store_dwordx4 v[148:151], v6, s[40:43], 0 offen offset:128// 0000000098A4: E07C1080 800A9406
	s_mul_i32 s60, 8, s70                                      // 0000000098AC: 923C4688
	v_add_u32_e32 v6, s60, v6                                  // 0000000098B0: 680C0C3C
	buffer_store_dwordx4 v[152:155], v6, s[40:43], 0 offen     // 0000000098B4: E07C1000 800A9806
	buffer_store_dwordx4 v[156:159], v6, s[40:43], 0 offen offset:128// 0000000098BC: E07C1080 800A9C06
	s_mul_i32 s60, 8, s70                                      // 0000000098C4: 923C4688
	v_add_u32_e32 v6, s60, v6                                  // 0000000098C8: 680C0C3C
	s_mul_i32 s60, 48, s70                                     // 0000000098CC: 923C46B0
	v_add_u32_e32 v6, s60, v6                                  // 0000000098D0: 680C0C3C
	s_barrier                                                  // 0000000098D4: BF8A0000
	s_cmp_ge_i32 2, s73                                        // 0000000098D8: BF034982
	s_cbranch_scc1 label_16C7                                  // 0000000098DC: BF850071
	v_mov_b32_e32 v34, v192                                    // 0000000098E0: 7E4403C0
	v_mov_b32_e32 v35, v193                                    // 0000000098E4: 7E4603C1
	v_cvt_pk_f16_f32 v160, v34, v35                            // 0000000098E8: D26700A0 00024722
	v_mov_b32_e32 v34, v194                                    // 0000000098F0: 7E4403C2
	v_mov_b32_e32 v35, v195                                    // 0000000098F4: 7E4603C3
	v_cvt_pk_f16_f32 v161, v34, v35                            // 0000000098F8: D26700A1 00024722
	v_mov_b32_e32 v34, v196                                    // 000000009900: 7E4403C4
	v_mov_b32_e32 v35, v197                                    // 000000009904: 7E4603C5
	v_cvt_pk_f16_f32 v162, v34, v35                            // 000000009908: D26700A2 00024722
	v_mov_b32_e32 v34, v198                                    // 000000009910: 7E4403C6
	v_mov_b32_e32 v35, v199                                    // 000000009914: 7E4603C7
	v_cvt_pk_f16_f32 v163, v34, v35                            // 000000009918: D26700A3 00024722
	v_mov_b32_e32 v34, v200                                    // 000000009920: 7E4403C8
	v_mov_b32_e32 v35, v201                                    // 000000009924: 7E4603C9
	v_cvt_pk_f16_f32 v164, v34, v35                            // 000000009928: D26700A4 00024722
	v_mov_b32_e32 v34, v202                                    // 000000009930: 7E4403CA
	v_mov_b32_e32 v35, v203                                    // 000000009934: 7E4603CB
	v_cvt_pk_f16_f32 v165, v34, v35                            // 000000009938: D26700A5 00024722
	v_mov_b32_e32 v34, v204                                    // 000000009940: 7E4403CC
	v_mov_b32_e32 v35, v205                                    // 000000009944: 7E4603CD
	v_cvt_pk_f16_f32 v166, v34, v35                            // 000000009948: D26700A6 00024722
	v_mov_b32_e32 v34, v206                                    // 000000009950: 7E4403CE
	v_mov_b32_e32 v35, v207                                    // 000000009954: 7E4603CF
	v_cvt_pk_f16_f32 v167, v34, v35                            // 000000009958: D26700A7 00024722
	v_mov_b32_e32 v34, v208                                    // 000000009960: 7E4403D0
	v_mov_b32_e32 v35, v209                                    // 000000009964: 7E4603D1
	v_cvt_pk_f16_f32 v168, v34, v35                            // 000000009968: D26700A8 00024722
	v_mov_b32_e32 v34, v210                                    // 000000009970: 7E4403D2
	v_mov_b32_e32 v35, v211                                    // 000000009974: 7E4603D3
	v_cvt_pk_f16_f32 v169, v34, v35                            // 000000009978: D26700A9 00024722
	v_mov_b32_e32 v34, v212                                    // 000000009980: 7E4403D4
	v_mov_b32_e32 v35, v213                                    // 000000009984: 7E4603D5
	v_cvt_pk_f16_f32 v170, v34, v35                            // 000000009988: D26700AA 00024722
	v_mov_b32_e32 v34, v214                                    // 000000009990: 7E4403D6
	v_mov_b32_e32 v35, v215                                    // 000000009994: 7E4603D7
	v_cvt_pk_f16_f32 v171, v34, v35                            // 000000009998: D26700AB 00024722
	v_mov_b32_e32 v34, v216                                    // 0000000099A0: 7E4403D8
	v_mov_b32_e32 v35, v217                                    // 0000000099A4: 7E4603D9
	v_cvt_pk_f16_f32 v172, v34, v35                            // 0000000099A8: D26700AC 00024722
	v_mov_b32_e32 v34, v218                                    // 0000000099B0: 7E4403DA
	v_mov_b32_e32 v35, v219                                    // 0000000099B4: 7E4603DB
	v_cvt_pk_f16_f32 v173, v34, v35                            // 0000000099B8: D26700AD 00024722
	v_mov_b32_e32 v34, v220                                    // 0000000099C0: 7E4403DC
	v_mov_b32_e32 v35, v221                                    // 0000000099C4: 7E4603DD
	v_cvt_pk_f16_f32 v174, v34, v35                            // 0000000099C8: D26700AE 00024722
	v_mov_b32_e32 v34, v222                                    // 0000000099D0: 7E4403DE
	v_mov_b32_e32 v35, v223                                    // 0000000099D4: 7E4603DF
	v_cvt_pk_f16_f32 v175, v34, v35                            // 0000000099D8: D26700AF 00024722
	ds_write_b64 v25, v[160:161] offset:52224                  // 0000000099E0: D89ACC00 0000A019
	ds_write_b64 v25, v[162:163] offset:52800                  // 0000000099E8: D89ACE40 0000A219
	ds_write_b64 v25, v[164:165] offset:53376                  // 0000000099F0: D89AD080 0000A419
	ds_write_b64 v25, v[166:167] offset:53952                  // 0000000099F8: D89AD2C0 0000A619
	ds_write_b64 v25, v[168:169] offset:54528                  // 000000009A00: D89AD500 0000A819
	ds_write_b64 v25, v[170:171] offset:55104                  // 000000009A08: D89AD740 0000AA19
	ds_write_b64 v25, v[172:173] offset:55680                  // 000000009A10: D89AD980 0000AC19
	ds_write_b64 v25, v[174:175] offset:56256                  // 000000009A18: D89ADBC0 0000AE19
	s_waitcnt lgkmcnt(0)                                       // 000000009A20: BF8CC07F
	s_barrier                                                  // 000000009A24: BF8A0000
	ds_read_b64 v[160:161], v23 offset:52224                   // 000000009A28: D8ECCC00 A0000017
	ds_read_b64 v[162:163], v23 offset:52352                   // 000000009A30: D8ECCC80 A2000017
	ds_read_b64 v[164:165], v23 offset:54528                   // 000000009A38: D8ECD500 A4000017
	ds_read_b64 v[166:167], v23 offset:54656                   // 000000009A40: D8ECD580 A6000017
	ds_read_b64 v[168:169], v23 offset:52288                   // 000000009A48: D8ECCC40 A8000017
	ds_read_b64 v[170:171], v23 offset:52416                   // 000000009A50: D8ECCCC0 AA000017
	ds_read_b64 v[172:173], v23 offset:54592                   // 000000009A58: D8ECD540 AC000017
	ds_read_b64 v[174:175], v23 offset:54720                   // 000000009A60: D8ECD5C0 AE000017
	s_waitcnt lgkmcnt(0)                                       // 000000009A68: BF8CC07F
	s_mov_b32 s70, s53                                         // 000000009A6C: BEC60035
	buffer_store_dwordx4 v[160:163], v6, s[40:43], 0 offen     // 000000009A70: E07C1000 800AA006
	buffer_store_dwordx4 v[164:167], v6, s[40:43], 0 offen offset:128// 000000009A78: E07C1080 800AA406
	s_mul_i32 s60, 8, s70                                      // 000000009A80: 923C4688
	v_add_u32_e32 v6, s60, v6                                  // 000000009A84: 680C0C3C
	buffer_store_dwordx4 v[168:171], v6, s[40:43], 0 offen     // 000000009A88: E07C1000 800AA806
	buffer_store_dwordx4 v[172:175], v6, s[40:43], 0 offen offset:128// 000000009A90: E07C1080 800AAC06
	s_mul_i32 s60, 8, s70                                      // 000000009A98: 923C4688
	v_add_u32_e32 v6, s60, v6                                  // 000000009A9C: 680C0C3C
	s_barrier                                                  // 000000009AA0: BF8A0000

0000000000009aa4 <label_16C7>:
	v_accvgpr_read_b32 v34, a112                               // 000000009AA4: D3D84022 18000170
	v_accvgpr_read_b32 v35, a113                               // 000000009AAC: D3D84023 18000171
	v_mul_f32_e32 v34, s47, v34                                // 000000009AB4: 0A44442F
	v_mul_f32_e32 v35, s47, v35                                // 000000009AB8: 0A46462F
	v_cvt_pk_f16_f32 v128, v34, v35                            // 000000009ABC: D2670080 00024722
	v_accvgpr_read_b32 v34, a114                               // 000000009AC4: D3D84022 18000172
	v_accvgpr_read_b32 v35, a115                               // 000000009ACC: D3D84023 18000173
	v_mul_f32_e32 v34, s47, v34                                // 000000009AD4: 0A44442F
	v_mul_f32_e32 v35, s47, v35                                // 000000009AD8: 0A46462F
	v_cvt_pk_f16_f32 v129, v34, v35                            // 000000009ADC: D2670081 00024722
	v_accvgpr_read_b32 v34, a116                               // 000000009AE4: D3D84022 18000174
	v_accvgpr_read_b32 v35, a117                               // 000000009AEC: D3D84023 18000175
	v_mul_f32_e32 v34, s47, v34                                // 000000009AF4: 0A44442F
	v_mul_f32_e32 v35, s47, v35                                // 000000009AF8: 0A46462F
	v_cvt_pk_f16_f32 v130, v34, v35                            // 000000009AFC: D2670082 00024722
	v_accvgpr_read_b32 v34, a118                               // 000000009B04: D3D84022 18000176
	v_accvgpr_read_b32 v35, a119                               // 000000009B0C: D3D84023 18000177
	v_mul_f32_e32 v34, s47, v34                                // 000000009B14: 0A44442F
	v_mul_f32_e32 v35, s47, v35                                // 000000009B18: 0A46462F
	v_cvt_pk_f16_f32 v131, v34, v35                            // 000000009B1C: D2670083 00024722
	v_accvgpr_read_b32 v34, a120                               // 000000009B24: D3D84022 18000178
	v_accvgpr_read_b32 v35, a121                               // 000000009B2C: D3D84023 18000179
	v_mul_f32_e32 v34, s47, v34                                // 000000009B34: 0A44442F
	v_mul_f32_e32 v35, s47, v35                                // 000000009B38: 0A46462F
	v_cvt_pk_f16_f32 v132, v34, v35                            // 000000009B3C: D2670084 00024722
	v_accvgpr_read_b32 v34, a122                               // 000000009B44: D3D84022 1800017A
	v_accvgpr_read_b32 v35, a123                               // 000000009B4C: D3D84023 1800017B
	v_mul_f32_e32 v34, s47, v34                                // 000000009B54: 0A44442F
	v_mul_f32_e32 v35, s47, v35                                // 000000009B58: 0A46462F
	v_cvt_pk_f16_f32 v133, v34, v35                            // 000000009B5C: D2670085 00024722
	v_accvgpr_read_b32 v34, a124                               // 000000009B64: D3D84022 1800017C
	v_accvgpr_read_b32 v35, a125                               // 000000009B6C: D3D84023 1800017D
	v_mul_f32_e32 v34, s47, v34                                // 000000009B74: 0A44442F
	v_mul_f32_e32 v35, s47, v35                                // 000000009B78: 0A46462F
	v_cvt_pk_f16_f32 v134, v34, v35                            // 000000009B7C: D2670086 00024722
	v_accvgpr_read_b32 v34, a126                               // 000000009B84: D3D84022 1800017E
	v_accvgpr_read_b32 v35, a127                               // 000000009B8C: D3D84023 1800017F
	v_mul_f32_e32 v34, s47, v34                                // 000000009B94: 0A44442F
	v_mul_f32_e32 v35, s47, v35                                // 000000009B98: 0A46462F
	v_cvt_pk_f16_f32 v135, v34, v35                            // 000000009B9C: D2670087 00024722
	v_accvgpr_read_b32 v34, a128                               // 000000009BA4: D3D84022 18000180
	v_accvgpr_read_b32 v35, a129                               // 000000009BAC: D3D84023 18000181
	v_mul_f32_e32 v34, s47, v34                                // 000000009BB4: 0A44442F
	v_mul_f32_e32 v35, s47, v35                                // 000000009BB8: 0A46462F
	v_cvt_pk_f16_f32 v136, v34, v35                            // 000000009BBC: D2670088 00024722
	v_accvgpr_read_b32 v34, a130                               // 000000009BC4: D3D84022 18000182
	v_accvgpr_read_b32 v35, a131                               // 000000009BCC: D3D84023 18000183
	v_mul_f32_e32 v34, s47, v34                                // 000000009BD4: 0A44442F
	v_mul_f32_e32 v35, s47, v35                                // 000000009BD8: 0A46462F
	v_cvt_pk_f16_f32 v137, v34, v35                            // 000000009BDC: D2670089 00024722
	v_accvgpr_read_b32 v34, a132                               // 000000009BE4: D3D84022 18000184
	v_accvgpr_read_b32 v35, a133                               // 000000009BEC: D3D84023 18000185
	v_mul_f32_e32 v34, s47, v34                                // 000000009BF4: 0A44442F
	v_mul_f32_e32 v35, s47, v35                                // 000000009BF8: 0A46462F
	v_cvt_pk_f16_f32 v138, v34, v35                            // 000000009BFC: D267008A 00024722
	v_accvgpr_read_b32 v34, a134                               // 000000009C04: D3D84022 18000186
	v_accvgpr_read_b32 v35, a135                               // 000000009C0C: D3D84023 18000187
	v_mul_f32_e32 v34, s47, v34                                // 000000009C14: 0A44442F
	v_mul_f32_e32 v35, s47, v35                                // 000000009C18: 0A46462F
	v_cvt_pk_f16_f32 v139, v34, v35                            // 000000009C1C: D267008B 00024722
	v_accvgpr_read_b32 v34, a136                               // 000000009C24: D3D84022 18000188
	v_accvgpr_read_b32 v35, a137                               // 000000009C2C: D3D84023 18000189
	v_mul_f32_e32 v34, s47, v34                                // 000000009C34: 0A44442F
	v_mul_f32_e32 v35, s47, v35                                // 000000009C38: 0A46462F
	v_cvt_pk_f16_f32 v140, v34, v35                            // 000000009C3C: D267008C 00024722
	v_accvgpr_read_b32 v34, a138                               // 000000009C44: D3D84022 1800018A
	v_accvgpr_read_b32 v35, a139                               // 000000009C4C: D3D84023 1800018B
	v_mul_f32_e32 v34, s47, v34                                // 000000009C54: 0A44442F
	v_mul_f32_e32 v35, s47, v35                                // 000000009C58: 0A46462F
	v_cvt_pk_f16_f32 v141, v34, v35                            // 000000009C5C: D267008D 00024722
	v_accvgpr_read_b32 v34, a140                               // 000000009C64: D3D84022 1800018C
	v_accvgpr_read_b32 v35, a141                               // 000000009C6C: D3D84023 1800018D
	v_mul_f32_e32 v34, s47, v34                                // 000000009C74: 0A44442F
	v_mul_f32_e32 v35, s47, v35                                // 000000009C78: 0A46462F
	v_cvt_pk_f16_f32 v142, v34, v35                            // 000000009C7C: D267008E 00024722
	v_accvgpr_read_b32 v34, a142                               // 000000009C84: D3D84022 1800018E
	v_accvgpr_read_b32 v35, a143                               // 000000009C8C: D3D84023 1800018F
	v_mul_f32_e32 v34, s47, v34                                // 000000009C94: 0A44442F
	v_mul_f32_e32 v35, s47, v35                                // 000000009C98: 0A46462F
	v_cvt_pk_f16_f32 v143, v34, v35                            // 000000009C9C: D267008F 00024722
	v_accvgpr_read_b32 v34, a144                               // 000000009CA4: D3D84022 18000190
	v_accvgpr_read_b32 v35, a145                               // 000000009CAC: D3D84023 18000191
	v_mul_f32_e32 v34, s47, v34                                // 000000009CB4: 0A44442F
	v_mul_f32_e32 v35, s47, v35                                // 000000009CB8: 0A46462F
	v_cvt_pk_f16_f32 v144, v34, v35                            // 000000009CBC: D2670090 00024722
	v_accvgpr_read_b32 v34, a146                               // 000000009CC4: D3D84022 18000192
	v_accvgpr_read_b32 v35, a147                               // 000000009CCC: D3D84023 18000193
	v_mul_f32_e32 v34, s47, v34                                // 000000009CD4: 0A44442F
	v_mul_f32_e32 v35, s47, v35                                // 000000009CD8: 0A46462F
	v_cvt_pk_f16_f32 v145, v34, v35                            // 000000009CDC: D2670091 00024722
	v_accvgpr_read_b32 v34, a148                               // 000000009CE4: D3D84022 18000194
	v_accvgpr_read_b32 v35, a149                               // 000000009CEC: D3D84023 18000195
	v_mul_f32_e32 v34, s47, v34                                // 000000009CF4: 0A44442F
	v_mul_f32_e32 v35, s47, v35                                // 000000009CF8: 0A46462F
	v_cvt_pk_f16_f32 v146, v34, v35                            // 000000009CFC: D2670092 00024722
	v_accvgpr_read_b32 v34, a150                               // 000000009D04: D3D84022 18000196
	v_accvgpr_read_b32 v35, a151                               // 000000009D0C: D3D84023 18000197
	v_mul_f32_e32 v34, s47, v34                                // 000000009D14: 0A44442F
	v_mul_f32_e32 v35, s47, v35                                // 000000009D18: 0A46462F
	v_cvt_pk_f16_f32 v147, v34, v35                            // 000000009D1C: D2670093 00024722
	v_accvgpr_read_b32 v34, a152                               // 000000009D24: D3D84022 18000198
	v_accvgpr_read_b32 v35, a153                               // 000000009D2C: D3D84023 18000199
	v_mul_f32_e32 v34, s47, v34                                // 000000009D34: 0A44442F
	v_mul_f32_e32 v35, s47, v35                                // 000000009D38: 0A46462F
	v_cvt_pk_f16_f32 v148, v34, v35                            // 000000009D3C: D2670094 00024722
	v_accvgpr_read_b32 v34, a154                               // 000000009D44: D3D84022 1800019A
	v_accvgpr_read_b32 v35, a155                               // 000000009D4C: D3D84023 1800019B
	v_mul_f32_e32 v34, s47, v34                                // 000000009D54: 0A44442F
	v_mul_f32_e32 v35, s47, v35                                // 000000009D58: 0A46462F
	v_cvt_pk_f16_f32 v149, v34, v35                            // 000000009D5C: D2670095 00024722
	v_accvgpr_read_b32 v34, a156                               // 000000009D64: D3D84022 1800019C
	v_accvgpr_read_b32 v35, a157                               // 000000009D6C: D3D84023 1800019D
	v_mul_f32_e32 v34, s47, v34                                // 000000009D74: 0A44442F
	v_mul_f32_e32 v35, s47, v35                                // 000000009D78: 0A46462F
	v_cvt_pk_f16_f32 v150, v34, v35                            // 000000009D7C: D2670096 00024722
	v_accvgpr_read_b32 v34, a158                               // 000000009D84: D3D84022 1800019E
	v_accvgpr_read_b32 v35, a159                               // 000000009D8C: D3D84023 1800019F
	v_mul_f32_e32 v34, s47, v34                                // 000000009D94: 0A44442F
	v_mul_f32_e32 v35, s47, v35                                // 000000009D98: 0A46462F
	v_cvt_pk_f16_f32 v151, v34, v35                            // 000000009D9C: D2670097 00024722
	v_accvgpr_read_b32 v34, a160                               // 000000009DA4: D3D84022 180001A0
	v_accvgpr_read_b32 v35, a161                               // 000000009DAC: D3D84023 180001A1
	v_mul_f32_e32 v34, s47, v34                                // 000000009DB4: 0A44442F
	v_mul_f32_e32 v35, s47, v35                                // 000000009DB8: 0A46462F
	v_cvt_pk_f16_f32 v152, v34, v35                            // 000000009DBC: D2670098 00024722
	v_accvgpr_read_b32 v34, a162                               // 000000009DC4: D3D84022 180001A2
	v_accvgpr_read_b32 v35, a163                               // 000000009DCC: D3D84023 180001A3
	v_mul_f32_e32 v34, s47, v34                                // 000000009DD4: 0A44442F
	v_mul_f32_e32 v35, s47, v35                                // 000000009DD8: 0A46462F
	v_cvt_pk_f16_f32 v153, v34, v35                            // 000000009DDC: D2670099 00024722
	v_accvgpr_read_b32 v34, a164                               // 000000009DE4: D3D84022 180001A4
	v_accvgpr_read_b32 v35, a165                               // 000000009DEC: D3D84023 180001A5
	v_mul_f32_e32 v34, s47, v34                                // 000000009DF4: 0A44442F
	v_mul_f32_e32 v35, s47, v35                                // 000000009DF8: 0A46462F
	v_cvt_pk_f16_f32 v154, v34, v35                            // 000000009DFC: D267009A 00024722
	v_accvgpr_read_b32 v34, a166                               // 000000009E04: D3D84022 180001A6
	v_accvgpr_read_b32 v35, a167                               // 000000009E0C: D3D84023 180001A7
	v_mul_f32_e32 v34, s47, v34                                // 000000009E14: 0A44442F
	v_mul_f32_e32 v35, s47, v35                                // 000000009E18: 0A46462F
	v_cvt_pk_f16_f32 v155, v34, v35                            // 000000009E1C: D267009B 00024722
	v_accvgpr_read_b32 v34, a168                               // 000000009E24: D3D84022 180001A8
	v_accvgpr_read_b32 v35, a169                               // 000000009E2C: D3D84023 180001A9
	v_mul_f32_e32 v34, s47, v34                                // 000000009E34: 0A44442F
	v_mul_f32_e32 v35, s47, v35                                // 000000009E38: 0A46462F
	v_cvt_pk_f16_f32 v156, v34, v35                            // 000000009E3C: D267009C 00024722
	v_accvgpr_read_b32 v34, a170                               // 000000009E44: D3D84022 180001AA
	v_accvgpr_read_b32 v35, a171                               // 000000009E4C: D3D84023 180001AB
	v_mul_f32_e32 v34, s47, v34                                // 000000009E54: 0A44442F
	v_mul_f32_e32 v35, s47, v35                                // 000000009E58: 0A46462F
	v_cvt_pk_f16_f32 v157, v34, v35                            // 000000009E5C: D267009D 00024722
	v_accvgpr_read_b32 v34, a172                               // 000000009E64: D3D84022 180001AC
	v_accvgpr_read_b32 v35, a173                               // 000000009E6C: D3D84023 180001AD
	v_mul_f32_e32 v34, s47, v34                                // 000000009E74: 0A44442F
	v_mul_f32_e32 v35, s47, v35                                // 000000009E78: 0A46462F
	v_cvt_pk_f16_f32 v158, v34, v35                            // 000000009E7C: D267009E 00024722
	v_accvgpr_read_b32 v34, a174                               // 000000009E84: D3D84022 180001AE
	v_accvgpr_read_b32 v35, a175                               // 000000009E8C: D3D84023 180001AF
	v_mul_f32_e32 v34, s47, v34                                // 000000009E94: 0A44442F
	v_mul_f32_e32 v35, s47, v35                                // 000000009E98: 0A46462F
	v_cvt_pk_f16_f32 v159, v34, v35                            // 000000009E9C: D267009F 00024722
	v_accvgpr_read_b32 v34, a176                               // 000000009EA4: D3D84022 180001B0
	v_accvgpr_read_b32 v35, a177                               // 000000009EAC: D3D84023 180001B1
	v_mul_f32_e32 v34, s47, v34                                // 000000009EB4: 0A44442F
	v_mul_f32_e32 v35, s47, v35                                // 000000009EB8: 0A46462F
	v_cvt_pk_f16_f32 v160, v34, v35                            // 000000009EBC: D26700A0 00024722
	v_accvgpr_read_b32 v34, a178                               // 000000009EC4: D3D84022 180001B2
	v_accvgpr_read_b32 v35, a179                               // 000000009ECC: D3D84023 180001B3
	v_mul_f32_e32 v34, s47, v34                                // 000000009ED4: 0A44442F
	v_mul_f32_e32 v35, s47, v35                                // 000000009ED8: 0A46462F
	v_cvt_pk_f16_f32 v161, v34, v35                            // 000000009EDC: D26700A1 00024722
	v_accvgpr_read_b32 v34, a180                               // 000000009EE4: D3D84022 180001B4
	v_accvgpr_read_b32 v35, a181                               // 000000009EEC: D3D84023 180001B5
	v_mul_f32_e32 v34, s47, v34                                // 000000009EF4: 0A44442F
	v_mul_f32_e32 v35, s47, v35                                // 000000009EF8: 0A46462F
	v_cvt_pk_f16_f32 v162, v34, v35                            // 000000009EFC: D26700A2 00024722
	v_accvgpr_read_b32 v34, a182                               // 000000009F04: D3D84022 180001B6
	v_accvgpr_read_b32 v35, a183                               // 000000009F0C: D3D84023 180001B7
	v_mul_f32_e32 v34, s47, v34                                // 000000009F14: 0A44442F
	v_mul_f32_e32 v35, s47, v35                                // 000000009F18: 0A46462F
	v_cvt_pk_f16_f32 v163, v34, v35                            // 000000009F1C: D26700A3 00024722
	v_accvgpr_read_b32 v34, a184                               // 000000009F24: D3D84022 180001B8
	v_accvgpr_read_b32 v35, a185                               // 000000009F2C: D3D84023 180001B9
	v_mul_f32_e32 v34, s47, v34                                // 000000009F34: 0A44442F
	v_mul_f32_e32 v35, s47, v35                                // 000000009F38: 0A46462F
	v_cvt_pk_f16_f32 v164, v34, v35                            // 000000009F3C: D26700A4 00024722
	v_accvgpr_read_b32 v34, a186                               // 000000009F44: D3D84022 180001BA
	v_accvgpr_read_b32 v35, a187                               // 000000009F4C: D3D84023 180001BB
	v_mul_f32_e32 v34, s47, v34                                // 000000009F54: 0A44442F
	v_mul_f32_e32 v35, s47, v35                                // 000000009F58: 0A46462F
	v_cvt_pk_f16_f32 v165, v34, v35                            // 000000009F5C: D26700A5 00024722
	v_accvgpr_read_b32 v34, a188                               // 000000009F64: D3D84022 180001BC
	v_accvgpr_read_b32 v35, a189                               // 000000009F6C: D3D84023 180001BD
	v_mul_f32_e32 v34, s47, v34                                // 000000009F74: 0A44442F
	v_mul_f32_e32 v35, s47, v35                                // 000000009F78: 0A46462F
	v_cvt_pk_f16_f32 v166, v34, v35                            // 000000009F7C: D26700A6 00024722
	v_accvgpr_read_b32 v34, a190                               // 000000009F84: D3D84022 180001BE
	v_accvgpr_read_b32 v35, a191                               // 000000009F8C: D3D84023 180001BF
	v_mul_f32_e32 v34, s47, v34                                // 000000009F94: 0A44442F
	v_mul_f32_e32 v35, s47, v35                                // 000000009F98: 0A46462F
	v_cvt_pk_f16_f32 v167, v34, v35                            // 000000009F9C: D26700A7 00024722
	v_accvgpr_read_b32 v34, a192                               // 000000009FA4: D3D84022 180001C0
	v_accvgpr_read_b32 v35, a193                               // 000000009FAC: D3D84023 180001C1
	v_mul_f32_e32 v34, s47, v34                                // 000000009FB4: 0A44442F
	v_mul_f32_e32 v35, s47, v35                                // 000000009FB8: 0A46462F
	v_cvt_pk_f16_f32 v168, v34, v35                            // 000000009FBC: D26700A8 00024722
	v_accvgpr_read_b32 v34, a194                               // 000000009FC4: D3D84022 180001C2
	v_accvgpr_read_b32 v35, a195                               // 000000009FCC: D3D84023 180001C3
	v_mul_f32_e32 v34, s47, v34                                // 000000009FD4: 0A44442F
	v_mul_f32_e32 v35, s47, v35                                // 000000009FD8: 0A46462F
	v_cvt_pk_f16_f32 v169, v34, v35                            // 000000009FDC: D26700A9 00024722
	v_accvgpr_read_b32 v34, a196                               // 000000009FE4: D3D84022 180001C4
	v_accvgpr_read_b32 v35, a197                               // 000000009FEC: D3D84023 180001C5
	v_mul_f32_e32 v34, s47, v34                                // 000000009FF4: 0A44442F
	v_mul_f32_e32 v35, s47, v35                                // 000000009FF8: 0A46462F
	v_cvt_pk_f16_f32 v170, v34, v35                            // 000000009FFC: D26700AA 00024722
	v_accvgpr_read_b32 v34, a198                               // 00000000A004: D3D84022 180001C6
	v_accvgpr_read_b32 v35, a199                               // 00000000A00C: D3D84023 180001C7
	v_mul_f32_e32 v34, s47, v34                                // 00000000A014: 0A44442F
	v_mul_f32_e32 v35, s47, v35                                // 00000000A018: 0A46462F
	v_cvt_pk_f16_f32 v171, v34, v35                            // 00000000A01C: D26700AB 00024722
	v_accvgpr_read_b32 v34, a200                               // 00000000A024: D3D84022 180001C8
	v_accvgpr_read_b32 v35, a201                               // 00000000A02C: D3D84023 180001C9
	v_mul_f32_e32 v34, s47, v34                                // 00000000A034: 0A44442F
	v_mul_f32_e32 v35, s47, v35                                // 00000000A038: 0A46462F
	v_cvt_pk_f16_f32 v172, v34, v35                            // 00000000A03C: D26700AC 00024722
	v_accvgpr_read_b32 v34, a202                               // 00000000A044: D3D84022 180001CA
	v_accvgpr_read_b32 v35, a203                               // 00000000A04C: D3D84023 180001CB
	v_mul_f32_e32 v34, s47, v34                                // 00000000A054: 0A44442F
	v_mul_f32_e32 v35, s47, v35                                // 00000000A058: 0A46462F
	v_cvt_pk_f16_f32 v173, v34, v35                            // 00000000A05C: D26700AD 00024722
	v_accvgpr_read_b32 v34, a204                               // 00000000A064: D3D84022 180001CC
	v_accvgpr_read_b32 v35, a205                               // 00000000A06C: D3D84023 180001CD
	v_mul_f32_e32 v34, s47, v34                                // 00000000A074: 0A44442F
	v_mul_f32_e32 v35, s47, v35                                // 00000000A078: 0A46462F
	v_cvt_pk_f16_f32 v174, v34, v35                            // 00000000A07C: D26700AE 00024722
	v_accvgpr_read_b32 v34, a206                               // 00000000A084: D3D84022 180001CE
	v_accvgpr_read_b32 v35, a207                               // 00000000A08C: D3D84023 180001CF
	v_mul_f32_e32 v34, s47, v34                                // 00000000A094: 0A44442F
	v_mul_f32_e32 v35, s47, v35                                // 00000000A098: 0A46462F
	v_cvt_pk_f16_f32 v175, v34, v35                            // 00000000A09C: D26700AF 00024722
	ds_write_b64 v24, v[128:129]                               // 00000000A0A4: D89A0000 00008018
	ds_write_b64 v24, v[130:131] offset:544                    // 00000000A0AC: D89A0220 00008218
	ds_write_b64 v24, v[132:133] offset:1088                   // 00000000A0B4: D89A0440 00008418
	ds_write_b64 v24, v[134:135] offset:1632                   // 00000000A0BC: D89A0660 00008618
	ds_write_b64 v24, v[136:137] offset:2176                   // 00000000A0C4: D89A0880 00008818
	ds_write_b64 v24, v[138:139] offset:2720                   // 00000000A0CC: D89A0AA0 00008A18
	ds_write_b64 v24, v[140:141] offset:3264                   // 00000000A0D4: D89A0CC0 00008C18
	ds_write_b64 v24, v[142:143] offset:3808                   // 00000000A0DC: D89A0EE0 00008E18
	ds_write_b64 v24, v[144:145] offset:4352                   // 00000000A0E4: D89A1100 00009018
	ds_write_b64 v24, v[146:147] offset:4896                   // 00000000A0EC: D89A1320 00009218
	ds_write_b64 v24, v[148:149] offset:5440                   // 00000000A0F4: D89A1540 00009418
	ds_write_b64 v24, v[150:151] offset:5984                   // 00000000A0FC: D89A1760 00009618
	ds_write_b64 v24, v[152:153] offset:6528                   // 00000000A104: D89A1980 00009818
	ds_write_b64 v24, v[154:155] offset:7072                   // 00000000A10C: D89A1BA0 00009A18
	ds_write_b64 v24, v[156:157] offset:7616                   // 00000000A114: D89A1DC0 00009C18
	ds_write_b64 v24, v[158:159] offset:8160                   // 00000000A11C: D89A1FE0 00009E18
	ds_write_b64 v24, v[160:161] offset:8704                   // 00000000A124: D89A2200 0000A018
	ds_write_b64 v24, v[162:163] offset:9248                   // 00000000A12C: D89A2420 0000A218
	ds_write_b64 v24, v[164:165] offset:9792                   // 00000000A134: D89A2640 0000A418
	ds_write_b64 v24, v[166:167] offset:10336                  // 00000000A13C: D89A2860 0000A618
	ds_write_b64 v24, v[168:169] offset:10880                  // 00000000A144: D89A2A80 0000A818
	ds_write_b64 v24, v[170:171] offset:11424                  // 00000000A14C: D89A2CA0 0000AA18
	ds_write_b64 v24, v[172:173] offset:11968                  // 00000000A154: D89A2EC0 0000AC18
	ds_write_b64 v24, v[174:175] offset:12512                  // 00000000A15C: D89A30E0 0000AE18
	s_waitcnt lgkmcnt(0)                                       // 00000000A164: BF8CC07F
	s_barrier                                                  // 00000000A168: BF8A0000
	ds_read_b64 v[128:129], v22                                // 00000000A16C: D8EC0000 80000016
	ds_read_b64 v[130:131], v22 offset:256                     // 00000000A174: D8EC0100 82000016
	ds_read_b64 v[132:133], v22 offset:4352                    // 00000000A17C: D8EC1100 84000016
	ds_read_b64 v[134:135], v22 offset:4608                    // 00000000A184: D8EC1200 86000016
	ds_read_b64 v[136:137], v22 offset:8704                    // 00000000A18C: D8EC2200 88000016
	ds_read_b64 v[138:139], v22 offset:8960                    // 00000000A194: D8EC2300 8A000016
	ds_read_b64 v[140:141], v22 offset:64                      // 00000000A19C: D8EC0040 8C000016
	ds_read_b64 v[142:143], v22 offset:320                     // 00000000A1A4: D8EC0140 8E000016
	ds_read_b64 v[144:145], v22 offset:4416                    // 00000000A1AC: D8EC1140 90000016
	ds_read_b64 v[146:147], v22 offset:4672                    // 00000000A1B4: D8EC1240 92000016
	ds_read_b64 v[148:149], v22 offset:8768                    // 00000000A1BC: D8EC2240 94000016
	ds_read_b64 v[150:151], v22 offset:9024                    // 00000000A1C4: D8EC2340 96000016
	ds_read_b64 v[152:153], v22 offset:128                     // 00000000A1CC: D8EC0080 98000016
	ds_read_b64 v[154:155], v22 offset:384                     // 00000000A1D4: D8EC0180 9A000016
	ds_read_b64 v[156:157], v22 offset:4480                    // 00000000A1DC: D8EC1180 9C000016
	ds_read_b64 v[158:159], v22 offset:4736                    // 00000000A1E4: D8EC1280 9E000016
	ds_read_b64 v[160:161], v22 offset:8832                    // 00000000A1EC: D8EC2280 A0000016
	ds_read_b64 v[162:163], v22 offset:9088                    // 00000000A1F4: D8EC2380 A2000016
	ds_read_b64 v[164:165], v22 offset:192                     // 00000000A1FC: D8EC00C0 A4000016
	ds_read_b64 v[166:167], v22 offset:448                     // 00000000A204: D8EC01C0 A6000016
	ds_read_b64 v[168:169], v22 offset:4544                    // 00000000A20C: D8EC11C0 A8000016
	ds_read_b64 v[170:171], v22 offset:4800                    // 00000000A214: D8EC12C0 AA000016
	ds_read_b64 v[172:173], v22 offset:8896                    // 00000000A21C: D8EC22C0 AC000016
	ds_read_b64 v[174:175], v22 offset:9152                    // 00000000A224: D8EC23C0 AE000016
	s_waitcnt lgkmcnt(0)                                       // 00000000A22C: BF8CC07F
	s_mov_b32 s70, s52                                         // 00000000A230: BEC60034
	buffer_store_dwordx4 v[128:131], v5, s[36:39], 0 offen     // 00000000A234: E07C1000 80098005
	buffer_store_dwordx4 v[132:135], v5, s[36:39], 0 offen offset:128// 00000000A23C: E07C1080 80098405
	buffer_store_dwordx4 v[136:139], v5, s[36:39], 0 offen offset:256// 00000000A244: E07C1100 80098805
	s_mul_i32 s60, 8, s70                                      // 00000000A24C: 923C4688
	v_add_u32_e32 v5, s60, v5                                  // 00000000A250: 680A0A3C
	buffer_store_dwordx4 v[140:143], v5, s[36:39], 0 offen     // 00000000A254: E07C1000 80098C05
	buffer_store_dwordx4 v[144:147], v5, s[36:39], 0 offen offset:128// 00000000A25C: E07C1080 80099005
	buffer_store_dwordx4 v[148:151], v5, s[36:39], 0 offen offset:256// 00000000A264: E07C1100 80099405
	s_mul_i32 s60, 8, s70                                      // 00000000A26C: 923C4688
	v_add_u32_e32 v5, s60, v5                                  // 00000000A270: 680A0A3C
	s_mul_i32 s60, 48, s70                                     // 00000000A274: 923C46B0
	v_add_u32_e32 v5, s60, v5                                  // 00000000A278: 680A0A3C
	buffer_store_dwordx4 v[152:155], v5, s[36:39], 0 offen     // 00000000A27C: E07C1000 80099805
	buffer_store_dwordx4 v[156:159], v5, s[36:39], 0 offen offset:128// 00000000A284: E07C1080 80099C05
	buffer_store_dwordx4 v[160:163], v5, s[36:39], 0 offen offset:256// 00000000A28C: E07C1100 8009A005
	s_mul_i32 s60, 8, s70                                      // 00000000A294: 923C4688
	v_add_u32_e32 v5, s60, v5                                  // 00000000A298: 680A0A3C
	buffer_store_dwordx4 v[164:167], v5, s[36:39], 0 offen     // 00000000A29C: E07C1000 8009A405
	buffer_store_dwordx4 v[168:171], v5, s[36:39], 0 offen offset:128// 00000000A2A4: E07C1080 8009A805
	buffer_store_dwordx4 v[172:175], v5, s[36:39], 0 offen offset:256// 00000000A2AC: E07C1100 8009AC05
	s_mul_i32 s60, 8, s70                                      // 00000000A2B4: 923C4688
	v_add_u32_e32 v5, s60, v5                                  // 00000000A2B8: 680A0A3C
	s_mul_i32 s60, 48, s70                                     // 00000000A2BC: 923C46B0
	v_add_u32_e32 v5, s60, v5                                  // 00000000A2C0: 680A0A3C
	s_cmp_ge_i32 2, s73                                        // 00000000A2C4: BF034982
	s_cbranch_scc1 label_19D5                                  // 00000000A2C8: BF850104
	v_accvgpr_read_b32 v34, a208                               // 00000000A2CC: D3D84022 180001D0
	v_accvgpr_read_b32 v35, a209                               // 00000000A2D4: D3D84023 180001D1
	v_mul_f32_e32 v34, s47, v34                                // 00000000A2DC: 0A44442F
	v_mul_f32_e32 v35, s47, v35                                // 00000000A2E0: 0A46462F
	v_cvt_pk_f16_f32 v176, v34, v35                            // 00000000A2E4: D26700B0 00024722
	v_accvgpr_read_b32 v34, a210                               // 00000000A2EC: D3D84022 180001D2
	v_accvgpr_read_b32 v35, a211                               // 00000000A2F4: D3D84023 180001D3
	v_mul_f32_e32 v34, s47, v34                                // 00000000A2FC: 0A44442F
	v_mul_f32_e32 v35, s47, v35                                // 00000000A300: 0A46462F
	v_cvt_pk_f16_f32 v177, v34, v35                            // 00000000A304: D26700B1 00024722
	v_accvgpr_read_b32 v34, a212                               // 00000000A30C: D3D84022 180001D4
	v_accvgpr_read_b32 v35, a213                               // 00000000A314: D3D84023 180001D5
	v_mul_f32_e32 v34, s47, v34                                // 00000000A31C: 0A44442F
	v_mul_f32_e32 v35, s47, v35                                // 00000000A320: 0A46462F
	v_cvt_pk_f16_f32 v178, v34, v35                            // 00000000A324: D26700B2 00024722
	v_accvgpr_read_b32 v34, a214                               // 00000000A32C: D3D84022 180001D6
	v_accvgpr_read_b32 v35, a215                               // 00000000A334: D3D84023 180001D7
	v_mul_f32_e32 v34, s47, v34                                // 00000000A33C: 0A44442F
	v_mul_f32_e32 v35, s47, v35                                // 00000000A340: 0A46462F
	v_cvt_pk_f16_f32 v179, v34, v35                            // 00000000A344: D26700B3 00024722
	v_accvgpr_read_b32 v34, a216                               // 00000000A34C: D3D84022 180001D8
	v_accvgpr_read_b32 v35, a217                               // 00000000A354: D3D84023 180001D9
	v_mul_f32_e32 v34, s47, v34                                // 00000000A35C: 0A44442F
	v_mul_f32_e32 v35, s47, v35                                // 00000000A360: 0A46462F
	v_cvt_pk_f16_f32 v180, v34, v35                            // 00000000A364: D26700B4 00024722
	v_accvgpr_read_b32 v34, a218                               // 00000000A36C: D3D84022 180001DA
	v_accvgpr_read_b32 v35, a219                               // 00000000A374: D3D84023 180001DB
	v_mul_f32_e32 v34, s47, v34                                // 00000000A37C: 0A44442F
	v_mul_f32_e32 v35, s47, v35                                // 00000000A380: 0A46462F
	v_cvt_pk_f16_f32 v181, v34, v35                            // 00000000A384: D26700B5 00024722
	v_accvgpr_read_b32 v34, a220                               // 00000000A38C: D3D84022 180001DC
	v_accvgpr_read_b32 v35, a221                               // 00000000A394: D3D84023 180001DD
	v_mul_f32_e32 v34, s47, v34                                // 00000000A39C: 0A44442F
	v_mul_f32_e32 v35, s47, v35                                // 00000000A3A0: 0A46462F
	v_cvt_pk_f16_f32 v182, v34, v35                            // 00000000A3A4: D26700B6 00024722
	v_accvgpr_read_b32 v34, a222                               // 00000000A3AC: D3D84022 180001DE
	v_accvgpr_read_b32 v35, a223                               // 00000000A3B4: D3D84023 180001DF
	v_mul_f32_e32 v34, s47, v34                                // 00000000A3BC: 0A44442F
	v_mul_f32_e32 v35, s47, v35                                // 00000000A3C0: 0A46462F
	v_cvt_pk_f16_f32 v183, v34, v35                            // 00000000A3C4: D26700B7 00024722
	v_accvgpr_read_b32 v34, a224                               // 00000000A3CC: D3D84022 180001E0
	v_accvgpr_read_b32 v35, a225                               // 00000000A3D4: D3D84023 180001E1
	v_mul_f32_e32 v34, s47, v34                                // 00000000A3DC: 0A44442F
	v_mul_f32_e32 v35, s47, v35                                // 00000000A3E0: 0A46462F
	v_cvt_pk_f16_f32 v184, v34, v35                            // 00000000A3E4: D26700B8 00024722
	v_accvgpr_read_b32 v34, a226                               // 00000000A3EC: D3D84022 180001E2
	v_accvgpr_read_b32 v35, a227                               // 00000000A3F4: D3D84023 180001E3
	v_mul_f32_e32 v34, s47, v34                                // 00000000A3FC: 0A44442F
	v_mul_f32_e32 v35, s47, v35                                // 00000000A400: 0A46462F
	v_cvt_pk_f16_f32 v185, v34, v35                            // 00000000A404: D26700B9 00024722
	v_accvgpr_read_b32 v34, a228                               // 00000000A40C: D3D84022 180001E4
	v_accvgpr_read_b32 v35, a229                               // 00000000A414: D3D84023 180001E5
	v_mul_f32_e32 v34, s47, v34                                // 00000000A41C: 0A44442F
	v_mul_f32_e32 v35, s47, v35                                // 00000000A420: 0A46462F
	v_cvt_pk_f16_f32 v186, v34, v35                            // 00000000A424: D26700BA 00024722
	v_accvgpr_read_b32 v34, a230                               // 00000000A42C: D3D84022 180001E6
	v_accvgpr_read_b32 v35, a231                               // 00000000A434: D3D84023 180001E7
	v_mul_f32_e32 v34, s47, v34                                // 00000000A43C: 0A44442F
	v_mul_f32_e32 v35, s47, v35                                // 00000000A440: 0A46462F
	v_cvt_pk_f16_f32 v187, v34, v35                            // 00000000A444: D26700BB 00024722
	v_accvgpr_read_b32 v34, a232                               // 00000000A44C: D3D84022 180001E8
	v_accvgpr_read_b32 v35, a233                               // 00000000A454: D3D84023 180001E9
	v_mul_f32_e32 v34, s47, v34                                // 00000000A45C: 0A44442F
	v_mul_f32_e32 v35, s47, v35                                // 00000000A460: 0A46462F
	v_cvt_pk_f16_f32 v188, v34, v35                            // 00000000A464: D26700BC 00024722
	v_accvgpr_read_b32 v34, a234                               // 00000000A46C: D3D84022 180001EA
	v_accvgpr_read_b32 v35, a235                               // 00000000A474: D3D84023 180001EB
	v_mul_f32_e32 v34, s47, v34                                // 00000000A47C: 0A44442F
	v_mul_f32_e32 v35, s47, v35                                // 00000000A480: 0A46462F
	v_cvt_pk_f16_f32 v189, v34, v35                            // 00000000A484: D26700BD 00024722
	v_accvgpr_read_b32 v34, a236                               // 00000000A48C: D3D84022 180001EC
	v_accvgpr_read_b32 v35, a237                               // 00000000A494: D3D84023 180001ED
	v_mul_f32_e32 v34, s47, v34                                // 00000000A49C: 0A44442F
	v_mul_f32_e32 v35, s47, v35                                // 00000000A4A0: 0A46462F
	v_cvt_pk_f16_f32 v190, v34, v35                            // 00000000A4A4: D26700BE 00024722
	v_accvgpr_read_b32 v34, a238                               // 00000000A4AC: D3D84022 180001EE
	v_accvgpr_read_b32 v35, a239                               // 00000000A4B4: D3D84023 180001EF
	v_mul_f32_e32 v34, s47, v34                                // 00000000A4BC: 0A44442F
	v_mul_f32_e32 v35, s47, v35                                // 00000000A4C0: 0A46462F
	v_cvt_pk_f16_f32 v191, v34, v35                            // 00000000A4C4: D26700BF 00024722
	v_accvgpr_read_b32 v34, a240                               // 00000000A4CC: D3D84022 180001F0
	v_accvgpr_read_b32 v35, a241                               // 00000000A4D4: D3D84023 180001F1
	v_mul_f32_e32 v34, s47, v34                                // 00000000A4DC: 0A44442F
	v_mul_f32_e32 v35, s47, v35                                // 00000000A4E0: 0A46462F
	v_cvt_pk_f16_f32 v192, v34, v35                            // 00000000A4E4: D26700C0 00024722
	v_accvgpr_read_b32 v34, a242                               // 00000000A4EC: D3D84022 180001F2
	v_accvgpr_read_b32 v35, a243                               // 00000000A4F4: D3D84023 180001F3
	v_mul_f32_e32 v34, s47, v34                                // 00000000A4FC: 0A44442F
	v_mul_f32_e32 v35, s47, v35                                // 00000000A500: 0A46462F
	v_cvt_pk_f16_f32 v193, v34, v35                            // 00000000A504: D26700C1 00024722
	v_accvgpr_read_b32 v34, a244                               // 00000000A50C: D3D84022 180001F4
	v_accvgpr_read_b32 v35, a245                               // 00000000A514: D3D84023 180001F5
	v_mul_f32_e32 v34, s47, v34                                // 00000000A51C: 0A44442F
	v_mul_f32_e32 v35, s47, v35                                // 00000000A520: 0A46462F
	v_cvt_pk_f16_f32 v194, v34, v35                            // 00000000A524: D26700C2 00024722
	v_accvgpr_read_b32 v34, a246                               // 00000000A52C: D3D84022 180001F6
	v_accvgpr_read_b32 v35, a247                               // 00000000A534: D3D84023 180001F7
	v_mul_f32_e32 v34, s47, v34                                // 00000000A53C: 0A44442F
	v_mul_f32_e32 v35, s47, v35                                // 00000000A540: 0A46462F
	v_cvt_pk_f16_f32 v195, v34, v35                            // 00000000A544: D26700C3 00024722
	v_accvgpr_read_b32 v34, a248                               // 00000000A54C: D3D84022 180001F8
	v_accvgpr_read_b32 v35, a249                               // 00000000A554: D3D84023 180001F9
	v_mul_f32_e32 v34, s47, v34                                // 00000000A55C: 0A44442F
	v_mul_f32_e32 v35, s47, v35                                // 00000000A560: 0A46462F
	v_cvt_pk_f16_f32 v196, v34, v35                            // 00000000A564: D26700C4 00024722
	v_accvgpr_read_b32 v34, a250                               // 00000000A56C: D3D84022 180001FA
	v_accvgpr_read_b32 v35, a251                               // 00000000A574: D3D84023 180001FB
	v_mul_f32_e32 v34, s47, v34                                // 00000000A57C: 0A44442F
	v_mul_f32_e32 v35, s47, v35                                // 00000000A580: 0A46462F
	v_cvt_pk_f16_f32 v197, v34, v35                            // 00000000A584: D26700C5 00024722
	v_accvgpr_read_b32 v34, a252                               // 00000000A58C: D3D84022 180001FC
	v_accvgpr_read_b32 v35, a253                               // 00000000A594: D3D84023 180001FD
	v_mul_f32_e32 v34, s47, v34                                // 00000000A59C: 0A44442F
	v_mul_f32_e32 v35, s47, v35                                // 00000000A5A0: 0A46462F
	v_cvt_pk_f16_f32 v198, v34, v35                            // 00000000A5A4: D26700C6 00024722
	v_accvgpr_read_b32 v34, a254                               // 00000000A5AC: D3D84022 180001FE
	v_accvgpr_read_b32 v35, a255                               // 00000000A5B4: D3D84023 180001FF
	v_mul_f32_e32 v34, s47, v34                                // 00000000A5BC: 0A44442F
	v_mul_f32_e32 v35, s47, v35                                // 00000000A5C0: 0A46462F
	v_cvt_pk_f16_f32 v199, v34, v35                            // 00000000A5C4: D26700C7 00024722
	ds_write_b64 v25, v[176:177] offset:52224                  // 00000000A5CC: D89ACC00 0000B019
	ds_write_b64 v25, v[178:179] offset:52800                  // 00000000A5D4: D89ACE40 0000B219
	ds_write_b64 v25, v[180:181] offset:53376                  // 00000000A5DC: D89AD080 0000B419
	ds_write_b64 v25, v[182:183] offset:53952                  // 00000000A5E4: D89AD2C0 0000B619
	ds_write_b64 v25, v[184:185] offset:54528                  // 00000000A5EC: D89AD500 0000B819
	ds_write_b64 v25, v[186:187] offset:55104                  // 00000000A5F4: D89AD740 0000BA19
	ds_write_b64 v25, v[188:189] offset:55680                  // 00000000A5FC: D89AD980 0000BC19
	ds_write_b64 v25, v[190:191] offset:56256                  // 00000000A604: D89ADBC0 0000BE19
	ds_write_b64 v25, v[192:193] offset:56832                  // 00000000A60C: D89ADE00 0000C019
	ds_write_b64 v25, v[194:195] offset:57408                  // 00000000A614: D89AE040 0000C219
	ds_write_b64 v25, v[196:197] offset:57984                  // 00000000A61C: D89AE280 0000C419
	ds_write_b64 v25, v[198:199] offset:58560                  // 00000000A624: D89AE4C0 0000C619
	s_waitcnt lgkmcnt(0)                                       // 00000000A62C: BF8CC07F
	s_barrier                                                  // 00000000A630: BF8A0000
	ds_read_b64 v[176:177], v23 offset:52224                   // 00000000A634: D8ECCC00 B0000017
	ds_read_b64 v[178:179], v23 offset:52352                   // 00000000A63C: D8ECCC80 B2000017
	ds_read_b64 v[180:181], v23 offset:54528                   // 00000000A644: D8ECD500 B4000017
	ds_read_b64 v[182:183], v23 offset:54656                   // 00000000A64C: D8ECD580 B6000017
	ds_read_b64 v[184:185], v23 offset:56832                   // 00000000A654: D8ECDE00 B8000017
	ds_read_b64 v[186:187], v23 offset:56960                   // 00000000A65C: D8ECDE80 BA000017
	ds_read_b64 v[188:189], v23 offset:52288                   // 00000000A664: D8ECCC40 BC000017
	ds_read_b64 v[190:191], v23 offset:52416                   // 00000000A66C: D8ECCCC0 BE000017
	ds_read_b64 v[192:193], v23 offset:54592                   // 00000000A674: D8ECD540 C0000017
	ds_read_b64 v[194:195], v23 offset:54720                   // 00000000A67C: D8ECD5C0 C2000017
	ds_read_b64 v[196:197], v23 offset:56896                   // 00000000A684: D8ECDE40 C4000017
	ds_read_b64 v[198:199], v23 offset:57024                   // 00000000A68C: D8ECDEC0 C6000017
	s_waitcnt lgkmcnt(0)                                       // 00000000A694: BF8CC07F
	s_mov_b32 s70, s52                                         // 00000000A698: BEC60034
	buffer_store_dwordx4 v[176:179], v5, s[36:39], 0 offen     // 00000000A69C: E07C1000 8009B005
	buffer_store_dwordx4 v[180:183], v5, s[36:39], 0 offen offset:128// 00000000A6A4: E07C1080 8009B405
	buffer_store_dwordx4 v[184:187], v5, s[36:39], 0 offen offset:256// 00000000A6AC: E07C1100 8009B805
	s_mul_i32 s60, 8, s70                                      // 00000000A6B4: 923C4688
	v_add_u32_e32 v5, s60, v5                                  // 00000000A6B8: 680A0A3C
	buffer_store_dwordx4 v[188:191], v5, s[36:39], 0 offen     // 00000000A6BC: E07C1000 8009BC05
	buffer_store_dwordx4 v[192:195], v5, s[36:39], 0 offen offset:128// 00000000A6C4: E07C1080 8009C005
	buffer_store_dwordx4 v[196:199], v5, s[36:39], 0 offen offset:256// 00000000A6CC: E07C1100 8009C405
	s_mul_i32 s60, 8, s70                                      // 00000000A6D4: 923C4688
	v_add_u32_e32 v5, s60, v5                                  // 00000000A6D8: 680A0A3C

000000000000a6dc <label_19D5>:
	s_waitcnt vmcnt(0) expcnt(0) lgkmcnt(0)                    // 00000000A6DC: BF8C0000
	s_endpgm                                                   // 00000000A6E0: BF810000
